;; amdgpu-corpus repo=ROCm/rocFFT kind=compiled arch=gfx906 opt=O3
	.text
	.amdgcn_target "amdgcn-amd-amdhsa--gfx906"
	.amdhsa_code_object_version 6
	.protected	bluestein_single_fwd_len768_dim1_sp_op_CI_CI ; -- Begin function bluestein_single_fwd_len768_dim1_sp_op_CI_CI
	.globl	bluestein_single_fwd_len768_dim1_sp_op_CI_CI
	.p2align	8
	.type	bluestein_single_fwd_len768_dim1_sp_op_CI_CI,@function
bluestein_single_fwd_len768_dim1_sp_op_CI_CI: ; @bluestein_single_fwd_len768_dim1_sp_op_CI_CI
; %bb.0:
	s_load_dwordx4 s[16:19], s[4:5], 0x28
	v_mul_u32_u24_e32 v1, 0x556, v0
	v_add_u32_sdwa v78, s6, v1 dst_sel:DWORD dst_unused:UNUSED_PAD src0_sel:DWORD src1_sel:WORD_1
	v_mov_b32_e32 v79, 0
	s_waitcnt lgkmcnt(0)
	v_cmp_gt_u64_e32 vcc, s[16:17], v[78:79]
	s_and_saveexec_b64 s[0:1], vcc
	s_cbranch_execz .LBB0_10
; %bb.1:
	s_load_dwordx4 s[12:15], s[4:5], 0x18
	s_load_dwordx4 s[0:3], s[4:5], 0x0
	v_mov_b32_e32 v2, 48
	v_mul_lo_u16_sdwa v1, v1, v2 dst_sel:DWORD dst_unused:UNUSED_PAD src0_sel:WORD_1 src1_sel:DWORD
	v_sub_u16_e32 v111, v0, v1
	s_waitcnt lgkmcnt(0)
	s_load_dwordx4 s[8:11], s[12:13], 0x0
	v_lshlrev_b32_e32 v109, 3, v111
	v_or_b32_e32 v110, 0xc0, v111
	v_or_b32_e32 v108, 0x180, v111
	;; [unrolled: 1-line block ×3, first 2 shown]
	s_waitcnt lgkmcnt(0)
	v_mad_u64_u32 v[0:1], s[6:7], s10, v78, 0
	v_mad_u64_u32 v[2:3], s[6:7], s8, v111, 0
	s_mul_i32 s13, s8, 0x300
	v_lshlrev_b32_e32 v39, 3, v107
	v_mad_u64_u32 v[4:5], s[6:7], s11, v78, v[1:2]
	v_mad_u64_u32 v[8:9], s[10:11], s8, v110, 0
	;; [unrolled: 1-line block ×3, first 2 shown]
	v_mov_b32_e32 v1, v4
	v_lshlrev_b64 v[0:1], 3, v[0:1]
	v_mov_b32_e32 v6, s19
	v_mov_b32_e32 v3, v5
	v_add_co_u32_e32 v31, vcc, s18, v0
	v_addc_co_u32_e32 v32, vcc, v6, v1, vcc
	v_lshlrev_b64 v[0:1], 3, v[2:3]
	v_mov_b32_e32 v2, s1
	v_add_co_u32_e32 v0, vcc, v31, v0
	v_addc_co_u32_e32 v1, vcc, v32, v1, vcc
	v_add_co_u32_e32 v30, vcc, s0, v109
	s_mul_i32 s6, s9, 0x180
	s_mul_hi_u32 s7, s8, 0x180
	v_addc_co_u32_e32 v33, vcc, 0, v2, vcc
	s_add_i32 s6, s7, s6
	s_mul_i32 s7, s8, 0x180
	v_mov_b32_e32 v3, s6
	v_add_co_u32_e32 v2, vcc, s7, v0
	v_addc_co_u32_e32 v3, vcc, v1, v3, vcc
	v_mov_b32_e32 v5, s6
	v_add_co_u32_e32 v4, vcc, s7, v2
	v_addc_co_u32_e32 v5, vcc, v3, v5, vcc
	v_mov_b32_e32 v7, s6
	v_add_co_u32_e32 v6, vcc, s7, v4
	v_addc_co_u32_e32 v7, vcc, v5, v7, vcc
	global_load_dwordx2 v[10:11], v[0:1], off
	global_load_dwordx2 v[12:13], v[2:3], off
	;; [unrolled: 1-line block ×4, first 2 shown]
	v_mov_b32_e32 v0, v9
	v_mad_u64_u32 v[0:1], s[10:11], s9, v110, v[0:1]
	s_mul_i32 s10, s9, 0x300
	s_mul_hi_u32 s11, s8, 0x300
	v_mov_b32_e32 v9, v0
	v_lshlrev_b64 v[0:1], 3, v[8:9]
	s_add_i32 s12, s11, s10
	v_mad_u64_u32 v[8:9], s[10:11], s8, v108, 0
	v_add_co_u32_e32 v0, vcc, v31, v0
	v_addc_co_u32_e32 v1, vcc, v32, v1, vcc
	v_mov_b32_e32 v3, s12
	v_add_co_u32_e32 v2, vcc, s13, v6
	v_addc_co_u32_e32 v3, vcc, v7, v3, vcc
	global_load_dwordx2 v[95:96], v109, s[0:1]
	global_load_dwordx2 v[93:94], v109, s[0:1] offset:384
	global_load_dwordx2 v[89:90], v109, s[0:1] offset:768
	;; [unrolled: 1-line block ×3, first 2 shown]
	global_load_dwordx2 v[4:5], v[0:1], off
	global_load_dwordx2 v[6:7], v[2:3], off
	v_mov_b32_e32 v1, s6
	v_add_co_u32_e32 v0, vcc, s7, v2
	v_addc_co_u32_e32 v1, vcc, v3, v1, vcc
	global_load_dwordx2 v[2:3], v[0:1], off
	v_mov_b32_e32 v18, s6
	v_add_co_u32_e32 v0, vcc, s7, v0
	v_addc_co_u32_e32 v1, vcc, v1, v18, vcc
	global_load_dwordx2 v[18:19], v[0:1], off
	global_load_dwordx2 v[91:92], v109, s[0:1] offset:1536
	global_load_dwordx2 v[87:88], v109, s[0:1] offset:1920
	;; [unrolled: 1-line block ×4, first 2 shown]
	v_mov_b32_e32 v22, s6
	v_mov_b32_e32 v26, s6
	v_mad_u64_u32 v[24:25], s[10:11], s8, v107, 0
	v_add_u32_e32 v37, 0x800, v109
	v_add_u32_e32 v40, 0x1000, v109
	s_waitcnt vmcnt(15)
	v_mad_u64_u32 v[20:21], s[10:11], s9, v108, v[9:10]
	s_movk_i32 s10, 0x1000
	v_mov_b32_e32 v9, v20
	v_lshlrev_b64 v[8:9], 3, v[8:9]
	v_mov_b32_e32 v20, s12
	v_add_co_u32_e32 v8, vcc, v31, v8
	v_addc_co_u32_e32 v9, vcc, v32, v9, vcc
	v_add_co_u32_e32 v0, vcc, s13, v0
	v_addc_co_u32_e32 v1, vcc, v1, v20, vcc
	global_load_dwordx2 v[20:21], v[0:1], off
	v_add_co_u32_e32 v0, vcc, s7, v0
	v_addc_co_u32_e32 v1, vcc, v1, v22, vcc
	global_load_dwordx2 v[8:9], v[8:9], off
	s_nop 0
	global_load_dwordx2 v[22:23], v[0:1], off
	global_load_dwordx2 v[81:82], v109, s[0:1] offset:3072
	global_load_dwordx2 v[76:77], v109, s[0:1] offset:3456
	global_load_dwordx2 v[72:73], v109, s[0:1] offset:3840
	v_add_co_u32_e32 v0, vcc, s7, v0
	v_addc_co_u32_e32 v1, vcc, v1, v26, vcc
	global_load_dwordx2 v[26:27], v[0:1], off
	global_load_dwordx2 v[70:71], v39, s[0:1]
	s_waitcnt vmcnt(1)
	v_mad_u64_u32 v[28:29], s[8:9], s9, v107, v[25:26]
	v_add_co_u32_e32 v29, vcc, s10, v30
	v_mov_b32_e32 v25, v28
	v_lshlrev_b64 v[24:25], 3, v[24:25]
	v_addc_co_u32_e32 v30, vcc, 0, v33, vcc
	v_add_co_u32_e32 v24, vcc, v31, v24
	v_addc_co_u32_e32 v25, vcc, v32, v25, vcc
	v_mov_b32_e32 v28, s12
	v_add_co_u32_e32 v0, vcc, s13, v0
	v_addc_co_u32_e32 v1, vcc, v1, v28, vcc
	global_load_dwordx2 v[74:75], v[29:30], off offset:128
	v_mov_b32_e32 v28, s6
	global_load_dwordx2 v[24:25], v[24:25], off
	s_nop 0
	global_load_dwordx2 v[31:32], v[0:1], off
	global_load_dwordx2 v[68:69], v[29:30], off offset:896
	v_add_co_u32_e32 v0, vcc, s7, v0
	v_addc_co_u32_e32 v1, vcc, v1, v28, vcc
	global_load_dwordx2 v[33:34], v[0:1], off
	global_load_dwordx2 v[66:67], v[29:30], off offset:1280
	v_add_co_u32_e32 v0, vcc, s7, v0
	v_addc_co_u32_e32 v1, vcc, v1, v28, vcc
	global_load_dwordx2 v[35:36], v[0:1], off
	global_load_dwordx2 v[64:65], v[29:30], off offset:1664
	v_mul_f32_e32 v0, v11, v96
	v_mul_f32_e32 v1, v10, v96
	v_fmac_f32_e32 v0, v10, v95
	v_fma_f32 v1, v11, v95, -v1
	v_mul_f32_e32 v10, v13, v94
	v_mul_f32_e32 v11, v12, v94
	v_fmac_f32_e32 v10, v12, v93
	v_fma_f32 v11, v13, v93, -v11
	s_load_dwordx2 s[6:7], s[4:5], 0x38
	s_load_dwordx4 s[8:11], s[14:15], 0x0
	ds_write2_b64 v109, v[0:1], v[10:11] offset1:48
	v_mul_f32_e32 v0, v15, v90
	v_mul_f32_e32 v1, v14, v90
	;; [unrolled: 1-line block ×4, first 2 shown]
	v_fmac_f32_e32 v0, v14, v89
	v_fma_f32 v1, v15, v89, -v1
	v_fmac_f32_e32 v10, v16, v85
	v_fma_f32 v11, v17, v85, -v11
	ds_write2_b64 v109, v[0:1], v[10:11] offset0:96 offset1:144
	v_mul_f32_e32 v0, v5, v92
	v_mul_f32_e32 v1, v4, v92
	v_fmac_f32_e32 v0, v4, v91
	v_fma_f32 v1, v5, v91, -v1
	v_mul_f32_e32 v4, v7, v88
	v_mul_f32_e32 v5, v6, v88
	v_fmac_f32_e32 v4, v6, v87
	v_fma_f32 v5, v7, v87, -v5
	ds_write2_b64 v109, v[0:1], v[4:5] offset0:192 offset1:240
	v_mul_f32_e32 v0, v3, v84
	v_mul_f32_e32 v1, v2, v84
	v_fmac_f32_e32 v0, v2, v83
	v_fma_f32 v1, v3, v83, -v1
	v_mul_f32_e32 v2, v19, v80
	v_mul_f32_e32 v3, v18, v80
	v_fmac_f32_e32 v2, v18, v79
	v_fma_f32 v3, v19, v79, -v3
	ds_write2_b64 v37, v[0:1], v[2:3] offset0:32 offset1:80
	v_mul_f32_e32 v0, v9, v82
	v_mul_f32_e32 v1, v8, v82
	;; [unrolled: 1-line block ×4, first 2 shown]
	v_fmac_f32_e32 v0, v8, v81
	v_fma_f32 v1, v9, v81, -v1
	v_fmac_f32_e32 v2, v20, v76
	v_fma_f32 v3, v21, v76, -v3
	ds_write2_b64 v37, v[0:1], v[2:3] offset0:128 offset1:176
	v_mul_f32_e32 v0, v23, v73
	v_mul_f32_e32 v1, v22, v73
	v_fmac_f32_e32 v0, v22, v72
	v_fma_f32 v1, v23, v72, -v1
	v_add_u32_e32 v20, 0xc00, v109
	v_cmp_gt_u16_e32 vcc, 16, v111
	s_waitcnt vmcnt(7)
	v_mul_f32_e32 v2, v27, v75
	v_mul_f32_e32 v3, v26, v75
	v_fmac_f32_e32 v2, v26, v74
	v_fma_f32 v3, v27, v74, -v3
	ds_write2_b64 v20, v[0:1], v[2:3] offset0:96 offset1:144
	s_waitcnt vmcnt(6)
	v_mul_f32_e32 v0, v25, v71
	v_mul_f32_e32 v1, v24, v71
	s_waitcnt vmcnt(4)
	v_mul_f32_e32 v2, v32, v69
	v_mul_f32_e32 v3, v31, v69
	v_fmac_f32_e32 v0, v24, v70
	v_fma_f32 v1, v25, v70, -v1
	v_fmac_f32_e32 v2, v31, v68
	v_fma_f32 v3, v32, v68, -v3
	ds_write2_b64 v40, v[0:1], v[2:3] offset0:64 offset1:112
	s_waitcnt vmcnt(2)
	v_mul_f32_e32 v0, v34, v67
	v_mul_f32_e32 v1, v33, v67
	s_waitcnt vmcnt(0)
	v_mul_f32_e32 v2, v36, v65
	v_mul_f32_e32 v3, v35, v65
	v_fmac_f32_e32 v0, v33, v66
	v_fma_f32 v1, v34, v66, -v1
	v_fmac_f32_e32 v2, v35, v64
	v_fma_f32 v3, v36, v64, -v3
	ds_write2_b64 v40, v[0:1], v[2:3] offset0:160 offset1:208
	s_waitcnt lgkmcnt(0)
	; wave barrier
	s_waitcnt lgkmcnt(0)
	ds_read2_b64 v[0:3], v109 offset1:48
	ds_read2_b64 v[4:7], v109 offset0:96 offset1:144
	ds_read2_b64 v[8:11], v109 offset0:192 offset1:240
	;; [unrolled: 1-line block ×7, first 2 shown]
	s_waitcnt lgkmcnt(4)
	v_sub_f32_e32 v13, v1, v13
	v_sub_f32_e32 v12, v0, v12
	v_sub_f32_e32 v15, v3, v15
	s_waitcnt lgkmcnt(1)
	v_sub_f32_e32 v24, v8, v24
	v_sub_f32_e32 v25, v9, v25
	v_fma_f32 v8, v8, 2.0, -v24
	v_sub_f32_e32 v26, v10, v26
	v_sub_f32_e32 v21, v5, v21
	s_waitcnt lgkmcnt(0)
	v_sub_f32_e32 v28, v16, v28
	v_add_f32_e32 v24, v13, v24
	v_fma_f32 v1, v1, 2.0, -v13
	v_sub_f32_e32 v14, v2, v14
	v_fma_f32 v9, v9, 2.0, -v25
	v_sub_f32_e32 v20, v4, v20
	v_sub_f32_e32 v27, v11, v27
	v_fma_f32 v10, v10, 2.0, -v26
	v_sub_f32_e32 v23, v7, v23
	;; [unrolled: 3-line block ×3, first 2 shown]
	v_sub_f32_e32 v25, v12, v25
	v_fma_f32 v13, v13, 2.0, -v24
	v_add_f32_e32 v28, v21, v28
	v_add_f32_e32 v26, v15, v26
	v_mov_b32_e32 v38, v24
	v_fma_f32 v0, v0, 2.0, -v12
	v_fma_f32 v3, v3, 2.0, -v15
	;; [unrolled: 1-line block ×4, first 2 shown]
	v_sub_f32_e32 v22, v6, v22
	v_fma_f32 v17, v17, 2.0, -v29
	v_sub_f32_e32 v31, v19, v31
	v_fma_f32 v18, v18, 2.0, -v30
	v_fma_f32 v12, v12, 2.0, -v25
	v_sub_f32_e32 v29, v20, v29
	v_fma_f32 v21, v21, 2.0, -v28
	v_sub_f32_e32 v27, v14, v27
	v_fma_f32 v15, v15, 2.0, -v26
	v_add_f32_e32 v30, v23, v30
	v_mov_b32_e32 v33, v13
	v_mov_b32_e32 v36, v25
	v_fmac_f32_e32 v38, 0x3f3504f3, v28
	v_fma_f32 v2, v2, 2.0, -v14
	v_fma_f32 v4, v4, 2.0, -v20
	;; [unrolled: 1-line block ×6, first 2 shown]
	v_sub_f32_e32 v31, v22, v31
	v_fma_f32 v23, v23, 2.0, -v30
	v_mov_b32_e32 v32, v12
	v_fmac_f32_e32 v33, 0xbf3504f3, v21
	v_fmac_f32_e32 v36, 0x3f3504f3, v29
	v_fmac_f32_e32 v38, 0x3f3504f3, v29
	v_mov_b32_e32 v29, v15
	v_fma_f32 v6, v6, 2.0, -v22
	v_sub_f32_e32 v9, v1, v9
	v_sub_f32_e32 v16, v4, v16
	v_fma_f32 v22, v22, 2.0, -v31
	v_fmac_f32_e32 v32, 0xbf3504f3, v20
	v_fmac_f32_e32 v33, 0x3f3504f3, v20
	;; [unrolled: 1-line block ×3, first 2 shown]
	v_mov_b32_e32 v28, v14
	v_fmac_f32_e32 v29, 0xbf3504f3, v23
	v_sub_f32_e32 v8, v0, v8
	v_sub_f32_e32 v17, v5, v17
	v_fmac_f32_e32 v32, 0xbf3504f3, v21
	v_fma_f32 v13, v13, 2.0, -v33
	v_add_f32_e32 v35, v9, v16
	v_fmac_f32_e32 v28, 0xbf3504f3, v22
	v_fmac_f32_e32 v29, 0x3f3504f3, v22
	v_fma_f32 v1, v1, 2.0, -v9
	v_fma_f32 v5, v5, 2.0, -v17
	v_sub_f32_e32 v10, v2, v10
	v_sub_f32_e32 v19, v7, v19
	v_fma_f32 v12, v12, 2.0, -v32
	v_sub_f32_e32 v34, v8, v17
	v_fma_f32 v17, v9, 2.0, -v35
	v_fmac_f32_e32 v28, 0xbf3504f3, v23
	v_fma_f32 v15, v15, 2.0, -v29
	v_mov_b32_e32 v9, v13
	v_fma_f32 v0, v0, 2.0, -v8
	v_fma_f32 v4, v4, 2.0, -v16
	v_sub_f32_e32 v11, v3, v11
	v_sub_f32_e32 v18, v6, v18
	v_fma_f32 v16, v8, 2.0, -v34
	v_fma_f32 v14, v14, 2.0, -v28
	v_sub_f32_e32 v41, v10, v19
	v_mov_b32_e32 v8, v12
	v_fmac_f32_e32 v9, 0xbf6c835e, v15
	v_fma_f32 v6, v6, 2.0, -v18
	v_add_f32_e32 v42, v11, v18
	v_fma_f32 v18, v10, 2.0, -v41
	v_mov_b32_e32 v43, v27
	v_fmac_f32_e32 v8, 0xbf6c835e, v14
	v_fmac_f32_e32 v9, 0x3ec3ef15, v14
	v_mov_b32_e32 v14, v16
	v_fma_f32 v7, v7, 2.0, -v19
	v_fma_f32 v19, v11, 2.0, -v42
	v_fmac_f32_e32 v43, 0x3f3504f3, v31
	v_mov_b32_e32 v44, v26
	v_fmac_f32_e32 v8, 0xbec3ef15, v15
	v_fmac_f32_e32 v14, 0xbf3504f3, v18
	v_mov_b32_e32 v15, v17
	v_fma_f32 v20, v25, 2.0, -v36
	v_fmac_f32_e32 v44, 0x3f3504f3, v30
	v_fmac_f32_e32 v43, 0xbf3504f3, v30
	;; [unrolled: 1-line block ×4, first 2 shown]
	v_fma_f32 v2, v2, 2.0, -v10
	v_fma_f32 v21, v24, 2.0, -v38
	v_fmac_f32_e32 v44, 0x3f3504f3, v31
	v_fma_f32 v22, v27, 2.0, -v43
	v_fmac_f32_e32 v15, 0x3f3504f3, v18
	v_fma_f32 v18, v16, 2.0, -v14
	v_mov_b32_e32 v16, v20
	v_fma_f32 v3, v3, 2.0, -v11
	v_sub_f32_e32 v5, v1, v5
	v_sub_f32_e32 v24, v2, v6
	v_fma_f32 v23, v26, 2.0, -v44
	v_fma_f32 v19, v17, 2.0, -v15
	v_fmac_f32_e32 v16, 0xbec3ef15, v22
	v_mov_b32_e32 v17, v21
	v_sub_f32_e32 v4, v0, v4
	v_sub_f32_e32 v25, v3, v7
	v_fmac_f32_e32 v17, 0xbec3ef15, v23
	v_fmac_f32_e32 v16, 0xbf6c835e, v23
	v_add_f32_e32 v23, v5, v24
	v_fma_f32 v0, v0, 2.0, -v4
	v_fma_f32 v1, v1, 2.0, -v5
	;; [unrolled: 1-line block ×4, first 2 shown]
	v_fmac_f32_e32 v17, 0x3f6c835e, v22
	v_sub_f32_e32 v22, v4, v25
	v_fma_f32 v27, v5, 2.0, -v23
	v_mov_b32_e32 v24, v32
	v_mov_b32_e32 v25, v33
	;; [unrolled: 1-line block ×3, first 2 shown]
	v_sub_f32_e32 v6, v0, v2
	v_sub_f32_e32 v7, v1, v3
	v_fma_f32 v26, v4, 2.0, -v22
	v_fmac_f32_e32 v24, 0x3ec3ef15, v28
	v_fmac_f32_e32 v25, 0x3ec3ef15, v29
	v_mov_b32_e32 v2, v34
	v_mov_b32_e32 v3, v35
	;; [unrolled: 1-line block ×3, first 2 shown]
	v_fmac_f32_e32 v5, 0x3f6c835e, v44
	v_fma_f32 v10, v0, 2.0, -v6
	v_fmac_f32_e32 v24, 0xbf6c835e, v29
	v_fmac_f32_e32 v25, 0x3f6c835e, v28
	v_fmac_f32_e32 v2, 0x3f3504f3, v41
	v_fmac_f32_e32 v3, 0x3f3504f3, v42
	v_fmac_f32_e32 v4, 0x3f6c835e, v43
	v_fmac_f32_e32 v5, 0x3ec3ef15, v43
	v_lshlrev_b16_e32 v0, 4, v111
	v_fma_f32 v11, v1, 2.0, -v7
	v_fma_f32 v12, v12, 2.0, -v8
	;; [unrolled: 1-line block ×7, first 2 shown]
	v_fmac_f32_e32 v2, 0xbf3504f3, v42
	v_fmac_f32_e32 v3, 0x3f3504f3, v41
	;; [unrolled: 1-line block ×3, first 2 shown]
	v_fma_f32 v33, v38, 2.0, -v5
	v_lshlrev_b32_e32 v38, 3, v0
	v_fma_f32 v30, v34, 2.0, -v2
	v_fma_f32 v31, v35, 2.0, -v3
	;; [unrolled: 1-line block ×3, first 2 shown]
	s_waitcnt lgkmcnt(0)
	; wave barrier
	ds_write_b128 v38, v[10:13]
	ds_write_b128 v38, v[18:21] offset:16
	ds_write_b128 v38, v[26:29] offset:32
	;; [unrolled: 1-line block ×7, first 2 shown]
	s_waitcnt lgkmcnt(0)
	; wave barrier
	s_waitcnt lgkmcnt(0)
	ds_read2_b64 v[10:13], v109 offset1:48
	ds_read2_b64 v[26:29], v40 offset1:48
	ds_read2_b64 v[22:25], v37 offset0:48 offset1:96
	ds_read2_b64 v[6:9], v109 offset0:96 offset1:144
	;; [unrolled: 1-line block ×4, first 2 shown]
	ds_read2st64_b64 v[0:3], v109 offset0:3 offset1:4
	ds_read_b64 v[34:35], v109 offset:5632
                                        ; implicit-def: $vgpr32
                                        ; implicit-def: $vgpr36
	s_and_saveexec_b64 s[4:5], vcc
	s_cbranch_execz .LBB0_3
; %bb.2:
	v_add_u32_e32 v4, 0x180, v109
	ds_read2st64_b64 v[30:33], v4 offset0:3 offset1:7
	ds_read_b64 v[36:37], v109 offset:6016
	s_waitcnt lgkmcnt(1)
	v_mov_b32_e32 v4, v30
	v_mov_b32_e32 v5, v31
.LBB0_3:
	s_or_b64 exec, exec, s[4:5]
	v_lshlrev_b32_e32 v30, 4, v111
	v_and_b32_e32 v30, 0xf0, v30
	v_and_b32_e32 v40, 15, v111
	global_load_dwordx2 v[97:98], v30, s[2:3]
	global_load_dwordx2 v[99:100], v30, s[2:3] offset:8
	global_load_dwordx2 v[101:102], v30, s[2:3] offset:4
	global_load_dword v112, v30, s[2:3] offset:12
	v_lshlrev_b32_e32 v30, 4, v40
	global_load_dword v113, v30, s[2:3]
	v_add_u32_e32 v41, 48, v111
	s_waitcnt lgkmcnt(0)
	; wave barrier
	s_waitcnt lgkmcnt(0)
	v_add_u32_e32 v42, 0x60, v111
	v_add_u32_e32 v43, 0x90, v111
	s_waitcnt vmcnt(4)
	v_mul_f32_e32 v44, v3, v98
	v_mul_f32_e32 v45, v2, v98
	s_waitcnt vmcnt(3)
	v_mul_f32_e32 v46, v27, v100
	v_mul_f32_e32 v47, v26, v100
	;; [unrolled: 1-line block ×8, first 2 shown]
	s_waitcnt vmcnt(2)
	v_fma_f32 v26, v26, v102, -v46
	v_fmac_f32_e32 v47, v27, v102
	s_waitcnt vmcnt(0)
	v_fma_f32 v2, v2, v113, -v44
	v_fmac_f32_e32 v45, v3, v113
	v_mul_f32_e32 v53, v24, v98
	v_mul_f32_e32 v56, v19, v98
	;; [unrolled: 1-line block ×5, first 2 shown]
	v_fma_f32 v27, v28, v102, -v50
	v_fmac_f32_e32 v51, v29, v102
	v_fma_f32 v28, v22, v113, -v48
	v_fmac_f32_e32 v49, v23, v113
	v_fmac_f32_e32 v57, v19, v113
	;; [unrolled: 1-line block ×3, first 2 shown]
	v_add_f32_e32 v17, v2, v26
	v_add_f32_e32 v19, v45, v47
	v_mul_f32_e32 v52, v25, v98
	v_fmac_f32_e32 v53, v25, v113
	v_fma_f32 v44, v18, v113, -v56
	v_fma_f32 v46, v16, v102, -v58
	;; [unrolled: 1-line block ×3, first 2 shown]
	v_fmac_f32_e32 v61, v21, v113
	v_add_f32_e32 v16, v10, v2
	v_add_f32_e32 v18, v11, v45
	;; [unrolled: 1-line block ×5, first 2 shown]
	v_fma_f32 v10, -0.5, v17, v10
	v_fma_f32 v11, -0.5, v19, v11
	v_sub_f32_e32 v23, v45, v47
	v_sub_f32_e32 v2, v2, v26
	v_add_f32_e32 v22, v13, v49
	v_add_f32_e32 v17, v18, v47
	;; [unrolled: 1-line block ×3, first 2 shown]
	v_fma_f32 v12, -0.5, v21, v12
	v_fmac_f32_e32 v13, -0.5, v25
	v_mov_b32_e32 v20, v10
	v_mov_b32_e32 v21, v11
	v_mul_f32_e32 v54, v15, v100
	v_fma_f32 v29, v24, v113, -v52
	v_fmac_f32_e32 v10, 0xbf5db3d7, v23
	v_fmac_f32_e32 v11, 0x3f5db3d7, v2
	;; [unrolled: 1-line block ×4, first 2 shown]
	v_sub_f32_e32 v2, v28, v27
	v_mov_b32_e32 v23, v13
	v_fma_f32 v3, v14, v102, -v54
	v_sub_f32_e32 v24, v49, v51
	v_add_f32_e32 v19, v22, v51
	v_mov_b32_e32 v22, v12
	v_fmac_f32_e32 v23, 0xbf5db3d7, v2
	v_fmac_f32_e32 v13, 0x3f5db3d7, v2
	v_add_f32_e32 v2, v6, v29
	v_mul_f32_e32 v55, v14, v100
	v_fmac_f32_e32 v12, 0xbf5db3d7, v24
	v_fmac_f32_e32 v22, 0x3f5db3d7, v24
	v_add_f32_e32 v24, v2, v3
	v_add_f32_e32 v2, v29, v3
	v_fmac_f32_e32 v55, v15, v102
	v_fma_f32 v6, -0.5, v2, v6
	v_add_f32_e32 v16, v16, v26
	v_sub_f32_e32 v2, v53, v55
	v_mov_b32_e32 v26, v6
	v_fmac_f32_e32 v26, 0x3f5db3d7, v2
	v_fmac_f32_e32 v6, 0xbf5db3d7, v2
	v_add_f32_e32 v2, v7, v53
	v_add_f32_e32 v25, v2, v55
	;; [unrolled: 1-line block ×3, first 2 shown]
	v_fma_f32 v7, -0.5, v2, v7
	v_sub_f32_e32 v2, v29, v3
	v_mov_b32_e32 v27, v7
	v_fmac_f32_e32 v27, 0xbf5db3d7, v2
	v_fmac_f32_e32 v7, 0x3f5db3d7, v2
	v_add_f32_e32 v2, v8, v44
	v_add_f32_e32 v28, v2, v46
	v_add_f32_e32 v2, v44, v46
	v_mul_f32_e32 v103, v33, v101
	v_fma_f32 v8, -0.5, v2, v8
	v_mul_f32_e32 v30, v32, v101
	v_fma_f32 v14, v32, v97, -v103
	v_sub_f32_e32 v2, v57, v59
	v_mov_b32_e32 v32, v8
	v_fmac_f32_e32 v32, 0x3f5db3d7, v2
	v_fmac_f32_e32 v8, 0xbf5db3d7, v2
	v_add_f32_e32 v2, v9, v57
	v_add_f32_e32 v29, v2, v59
	;; [unrolled: 1-line block ×3, first 2 shown]
	v_fmac_f32_e32 v9, -0.5, v2
	v_mul_f32_e32 v62, v35, v100
	v_fmac_f32_e32 v30, v33, v97
	v_sub_f32_e32 v2, v44, v46
	v_mov_b32_e32 v33, v9
	v_fma_f32 v50, v34, v102, -v62
	v_fmac_f32_e32 v33, 0xbf5db3d7, v2
	v_fmac_f32_e32 v9, 0x3f5db3d7, v2
	v_add_f32_e32 v2, v0, v48
	v_mul_f32_e32 v63, v34, v100
	v_add_f32_e32 v34, v2, v50
	v_add_f32_e32 v2, v48, v50
	v_mul_f32_e32 v104, v37, v112
	v_fmac_f32_e32 v63, v35, v102
	v_fma_f32 v0, -0.5, v2, v0
	v_mul_f32_e32 v31, v36, v112
	v_fma_f32 v15, v36, v99, -v104
	v_sub_f32_e32 v2, v61, v63
	v_mov_b32_e32 v36, v0
	v_fmac_f32_e32 v36, 0x3f5db3d7, v2
	v_fmac_f32_e32 v0, 0xbf5db3d7, v2
	v_add_f32_e32 v2, v1, v61
	v_add_f32_e32 v35, v2, v63
	;; [unrolled: 1-line block ×3, first 2 shown]
	v_fmac_f32_e32 v1, -0.5, v2
	v_fmac_f32_e32 v31, v37, v99
	v_sub_f32_e32 v2, v48, v50
	v_mov_b32_e32 v37, v1
	v_fmac_f32_e32 v37, 0xbf5db3d7, v2
	v_fmac_f32_e32 v1, 0x3f5db3d7, v2
	v_add_f32_e32 v2, v14, v15
	v_fma_f32 v103, -0.5, v2, v4
	v_sub_f32_e32 v3, v30, v31
	v_mov_b32_e32 v2, v103
	v_fmac_f32_e32 v2, 0x3f5db3d7, v3
	v_fmac_f32_e32 v103, 0xbf5db3d7, v3
	v_add_f32_e32 v3, v30, v31
	v_fma_f32 v104, -0.5, v3, v5
	v_sub_f32_e32 v44, v14, v15
	v_mov_b32_e32 v3, v104
	v_fmac_f32_e32 v3, 0xbf5db3d7, v44
	v_fmac_f32_e32 v104, 0x3f5db3d7, v44
	v_lshrrev_b32_e32 v44, 4, v111
	v_mul_u32_u24_e32 v44, 48, v44
	v_or_b32_e32 v44, v44, v40
	v_lshlrev_b32_e32 v114, 3, v44
	ds_write2_b64 v114, v[16:17], v[20:21] offset1:16
	ds_write_b64 v114, v[10:11] offset:256
	v_lshrrev_b32_e32 v10, 4, v41
	v_mul_u32_u24_e32 v10, 48, v10
	v_or_b32_e32 v10, v10, v40
	v_lshlrev_b32_e32 v115, 3, v10
	v_lshrrev_b32_e32 v10, 4, v42
	v_mul_u32_u24_e32 v10, 48, v10
	v_or_b32_e32 v10, v10, v40
	v_lshlrev_b32_e32 v116, 3, v10
	ds_write2_b64 v115, v[18:19], v[22:23] offset1:16
	ds_write_b64 v115, v[12:13] offset:256
	ds_write2_b64 v116, v[24:25], v[26:27] offset1:16
	ds_write_b64 v116, v[6:7] offset:256
	v_lshrrev_b32_e32 v6, 4, v43
	v_mul_u32_u24_e32 v6, 48, v6
	v_or_b32_e32 v6, v6, v40
	v_lshlrev_b32_e32 v117, 3, v6
	v_lshrrev_b32_e32 v6, 4, v110
	v_mul_u32_u24_e32 v6, 48, v6
	v_or_b32_e32 v6, v6, v40
	v_lshlrev_b32_e32 v118, 3, v6
	ds_write2_b64 v117, v[28:29], v[32:33] offset1:16
	ds_write_b64 v117, v[8:9] offset:256
	ds_write2_b64 v118, v[34:35], v[36:37] offset1:16
	ds_write_b64 v118, v[0:1] offset:256
	s_and_saveexec_b64 s[4:5], vcc
	s_cbranch_execz .LBB0_5
; %bb.4:
	v_add_f32_e32 v0, v5, v30
	v_add_f32_e32 v1, v0, v31
	;; [unrolled: 1-line block ×4, first 2 shown]
	v_add_u32_e32 v4, 0x1000, v109
	ds_write2_b64 v4, v[0:1], v[2:3] offset0:208 offset1:224
	ds_write_b64 v109, v[103:104] offset:6016
.LBB0_5:
	s_or_b64 exec, exec, s[4:5]
	v_mov_b32_e32 v5, s3
	s_add_u32 s4, s0, 0x1800
	s_movk_i32 s0, 0x78
	v_mov_b32_e32 v4, s2
	s_addc_u32 s5, s1, 0
	v_mad_u64_u32 v[56:57], s[0:1], v111, s0, v[4:5]
	v_add_u32_e32 v0, 0x800, v109
	v_add_u32_e32 v32, 0xc00, v109
	;; [unrolled: 1-line block ×3, first 2 shown]
	s_waitcnt lgkmcnt(0)
	; wave barrier
	s_waitcnt lgkmcnt(0)
	ds_read2_b64 v[33:36], v109 offset1:48
	ds_read2_b64 v[12:15], v109 offset0:96 offset1:144
	ds_read2_b64 v[20:23], v109 offset0:192 offset1:240
	ds_read2_b64 v[28:31], v0 offset0:32 offset1:80
	ds_read2_b64 v[40:43], v0 offset0:128 offset1:176
	ds_read2_b64 v[44:47], v32 offset0:96 offset1:144
	ds_read2_b64 v[48:51], v1 offset0:64 offset1:112
	ds_read2_b64 v[52:55], v1 offset0:160 offset1:208
	global_load_dwordx4 v[4:7], v[56:57], off offset:304
	global_load_dwordx4 v[8:11], v[56:57], off offset:288
	;; [unrolled: 1-line block ×4, first 2 shown]
	s_movk_i32 s12, 0x1000
	s_waitcnt vmcnt(3) lgkmcnt(4)
	v_mul_f32_e32 v123, v30, v5
	s_waitcnt vmcnt(2)
	v_mul_f32_e32 v119, v22, v9
	s_waitcnt vmcnt(1)
	;; [unrolled: 2-line block ×3, first 2 shown]
	v_mul_f32_e32 v37, v36, v25
	v_fma_f32 v37, v35, v24, -v37
	v_mul_f32_e32 v35, v35, v25
	v_fmac_f32_e32 v35, v36, v24
	v_mul_f32_e32 v36, v13, v27
	v_fma_f32 v36, v12, v26, -v36
	v_mul_f32_e32 v58, v12, v27
	v_mul_f32_e32 v12, v15, v17
	v_fma_f32 v59, v14, v16, -v12
	v_mul_f32_e32 v12, v21, v19
	v_fma_f32 v61, v20, v18, -v12
	;; [unrolled: 2-line block ×4, first 2 shown]
	v_mul_f32_e32 v12, v31, v5
	v_mul_f32_e32 v62, v20, v19
	;; [unrolled: 1-line block ×3, first 2 shown]
	v_fma_f32 v122, v30, v4, -v12
	s_waitcnt lgkmcnt(3)
	v_mul_f32_e32 v12, v41, v7
	v_fmac_f32_e32 v58, v13, v26
	v_fmac_f32_e32 v60, v15, v16
	;; [unrolled: 1-line block ×6, first 2 shown]
	v_fma_f32 v124, v40, v6, -v12
	global_load_dwordx2 v[105:106], v[56:57], off offset:368
	global_load_dwordx4 v[12:15], v[56:57], off offset:352
	global_load_dwordx4 v[20:23], v[56:57], off offset:336
	;; [unrolled: 1-line block ×3, first 2 shown]
	v_mul_f32_e32 v40, v40, v7
	v_fmac_f32_e32 v40, v41, v6
	v_sub_f32_e32 v40, v34, v40
	v_fma_f32 v34, v34, 2.0, -v40
	s_waitcnt vmcnt(0)
	v_mul_f32_e32 v41, v43, v29
	v_fma_f32 v41, v42, v28, -v41
	v_mul_f32_e32 v42, v42, v29
	v_fmac_f32_e32 v42, v43, v28
	s_waitcnt lgkmcnt(2)
	v_mul_f32_e32 v43, v45, v31
	v_fma_f32 v43, v44, v30, -v43
	v_mul_f32_e32 v44, v44, v31
	v_fmac_f32_e32 v44, v45, v30
	v_mul_f32_e32 v45, v47, v21
	v_fma_f32 v45, v46, v20, -v45
	v_mul_f32_e32 v46, v46, v21
	v_fmac_f32_e32 v46, v47, v20
	s_waitcnt lgkmcnt(1)
	v_mul_f32_e32 v47, v49, v23
	v_fma_f32 v47, v48, v22, -v47
	v_mul_f32_e32 v48, v48, v23
	v_fmac_f32_e32 v48, v49, v22
	;; [unrolled: 9-line block ×3, first 2 shown]
	v_mul_f32_e32 v53, v55, v106
	v_fma_f32 v53, v54, v105, -v53
	v_mul_f32_e32 v54, v54, v106
	v_fmac_f32_e32 v54, v55, v105
	v_sub_f32_e32 v55, v33, v124
	v_sub_f32_e32 v48, v62, v48
	;; [unrolled: 1-line block ×3, first 2 shown]
	v_fma_f32 v57, v62, 2.0, -v48
	v_sub_f32_e32 v43, v36, v43
	v_sub_f32_e32 v52, v121, v52
	;; [unrolled: 1-line block ×3, first 2 shown]
	v_fma_f32 v33, v33, 2.0, -v55
	v_fma_f32 v56, v61, 2.0, -v47
	v_sub_f32_e32 v44, v58, v44
	v_sub_f32_e32 v51, v120, v51
	v_fma_f32 v62, v121, 2.0, -v52
	v_sub_f32_e32 v41, v37, v41
	v_sub_f32_e32 v49, v63, v49
	;; [unrolled: 1-line block ×4, first 2 shown]
	v_add_f32_e32 v47, v40, v47
	v_fma_f32 v55, v55, 2.0, -v48
	v_sub_f32_e32 v52, v43, v52
	v_fma_f32 v36, v36, 2.0, -v43
	v_fma_f32 v58, v58, 2.0, -v44
	;; [unrolled: 1-line block ×3, first 2 shown]
	v_sub_f32_e32 v42, v35, v42
	v_fma_f32 v37, v37, 2.0, -v41
	v_sub_f32_e32 v50, v119, v50
	v_fma_f32 v63, v63, 2.0, -v49
	;; [unrolled: 2-line block ×4, first 2 shown]
	v_fma_f32 v40, v40, 2.0, -v47
	v_add_f32_e32 v51, v44, v51
	v_fma_f32 v43, v43, 2.0, -v52
	v_mov_b32_e32 v124, v55
	v_fma_f32 v35, v35, 2.0, -v42
	v_fma_f32 v119, v119, 2.0, -v50
	v_fma_f32 v60, v60, 2.0, -v46
	v_fma_f32 v121, v123, 2.0, -v54
	v_sub_f32_e32 v56, v33, v56
	v_sub_f32_e32 v57, v34, v57
	;; [unrolled: 1-line block ×4, first 2 shown]
	v_fma_f32 v44, v44, 2.0, -v51
	v_sub_f32_e32 v63, v37, v63
	v_sub_f32_e32 v120, v59, v120
	v_fmac_f32_e32 v124, 0xbf3504f3, v43
	v_mov_b32_e32 v125, v40
	v_fma_f32 v33, v33, 2.0, -v56
	v_fma_f32 v36, v36, 2.0, -v61
	;; [unrolled: 1-line block ×3, first 2 shown]
	v_sub_f32_e32 v119, v35, v119
	v_fma_f32 v37, v37, 2.0, -v63
	v_sub_f32_e32 v50, v41, v50
	v_add_f32_e32 v49, v42, v49
	v_sub_f32_e32 v121, v60, v121
	v_fma_f32 v59, v59, 2.0, -v120
	v_fmac_f32_e32 v125, 0xbf3504f3, v44
	v_fmac_f32_e32 v124, 0xbf3504f3, v44
	v_sub_f32_e32 v62, v56, v62
	v_add_f32_e32 v126, v57, v61
	v_fma_f32 v34, v34, 2.0, -v57
	v_fma_f32 v35, v35, 2.0, -v119
	;; [unrolled: 1-line block ×5, first 2 shown]
	v_sub_f32_e32 v54, v45, v54
	v_add_f32_e32 v53, v46, v53
	v_sub_f32_e32 v122, v33, v36
	v_fmac_f32_e32 v125, 0x3f3504f3, v43
	v_fma_f32 v43, v55, 2.0, -v124
	v_fma_f32 v55, v56, 2.0, -v62
	;; [unrolled: 1-line block ×3, first 2 shown]
	v_sub_f32_e32 v57, v37, v59
	v_fma_f32 v45, v45, 2.0, -v54
	v_fma_f32 v46, v46, 2.0, -v53
	;; [unrolled: 1-line block ×3, first 2 shown]
	v_sub_f32_e32 v59, v35, v60
	v_fma_f32 v33, v37, 2.0, -v57
	v_mov_b32_e32 v37, v41
	v_mov_b32_e32 v60, v42
	v_fmac_f32_e32 v37, 0xbf3504f3, v45
	v_fmac_f32_e32 v60, 0xbf3504f3, v46
	v_fma_f32 v44, v40, 2.0, -v125
	v_mov_b32_e32 v128, v47
	v_fmac_f32_e32 v37, 0xbf3504f3, v46
	v_fmac_f32_e32 v60, 0x3f3504f3, v45
	v_mov_b32_e32 v127, v48
	v_fmac_f32_e32 v128, 0x3f3504f3, v51
	v_fma_f32 v45, v41, 2.0, -v37
	v_fma_f32 v42, v42, 2.0, -v60
	v_mov_b32_e32 v40, v43
	v_mov_b32_e32 v41, v44
	v_fmac_f32_e32 v127, 0x3f3504f3, v52
	v_fmac_f32_e32 v128, 0x3f3504f3, v52
	v_add_f32_e32 v120, v119, v120
	v_mov_b32_e32 v129, v50
	v_fmac_f32_e32 v40, 0xbf6c835e, v45
	v_fmac_f32_e32 v41, 0xbf6c835e, v42
	;; [unrolled: 1-line block ×3, first 2 shown]
	v_fma_f32 v52, v47, 2.0, -v128
	v_sub_f32_e32 v121, v63, v121
	v_fma_f32 v47, v119, 2.0, -v120
	v_fmac_f32_e32 v129, 0x3f3504f3, v54
	v_mov_b32_e32 v130, v49
	v_fmac_f32_e32 v40, 0xbec3ef15, v42
	v_fmac_f32_e32 v41, 0x3ec3ef15, v45
	v_mov_b32_e32 v45, v56
	v_fma_f32 v51, v48, 2.0, -v127
	v_fma_f32 v46, v63, 2.0, -v121
	v_fmac_f32_e32 v130, 0x3f3504f3, v53
	v_fmac_f32_e32 v129, 0xbf3504f3, v53
	v_fma_f32 v42, v43, 2.0, -v40
	v_fma_f32 v43, v44, 2.0, -v41
	v_mov_b32_e32 v44, v55
	v_fmac_f32_e32 v45, 0xbf3504f3, v47
	v_fmac_f32_e32 v130, 0x3f3504f3, v54
	v_fma_f32 v50, v50, 2.0, -v129
	v_fmac_f32_e32 v44, 0xbf3504f3, v46
	v_fmac_f32_e32 v45, 0x3f3504f3, v46
	v_mov_b32_e32 v48, v51
	v_sub_f32_e32 v58, v34, v58
	v_fma_f32 v53, v49, 2.0, -v130
	v_fmac_f32_e32 v44, 0xbf3504f3, v47
	v_fma_f32 v47, v56, 2.0, -v45
	v_fmac_f32_e32 v48, 0xbec3ef15, v50
	v_mov_b32_e32 v49, v52
	v_mov_b32_e32 v56, v124
	v_fmac_f32_e32 v49, 0xbec3ef15, v53
	v_fmac_f32_e32 v48, 0xbf6c835e, v53
	v_add_f32_e32 v53, v58, v57
	v_fmac_f32_e32 v56, 0x3ec3ef15, v37
	v_mov_b32_e32 v57, v125
	v_fmac_f32_e32 v57, 0x3ec3ef15, v60
	v_fmac_f32_e32 v56, 0xbf6c835e, v60
	v_mov_b32_e32 v60, v62
	v_fmac_f32_e32 v60, 0x3f3504f3, v121
	v_mov_b32_e32 v61, v126
	v_fma_f32 v123, v34, 2.0, -v58
	v_fma_f32 v34, v35, 2.0, -v59
	v_fmac_f32_e32 v61, 0x3f3504f3, v120
	v_fmac_f32_e32 v60, 0xbf3504f3, v120
	v_mov_b32_e32 v119, v127
	v_mov_b32_e32 v120, v128
	v_sub_f32_e32 v33, v36, v33
	v_sub_f32_e32 v34, v123, v34
	v_fmac_f32_e32 v49, 0x3f6c835e, v50
	v_fmac_f32_e32 v119, 0x3f6c835e, v129
	;; [unrolled: 1-line block ×3, first 2 shown]
	v_fma_f32 v35, v36, 2.0, -v33
	v_fma_f32 v36, v123, 2.0, -v34
	;; [unrolled: 1-line block ×4, first 2 shown]
	v_sub_f32_e32 v52, v122, v59
	v_fmac_f32_e32 v57, 0x3f6c835e, v37
	v_fmac_f32_e32 v61, 0x3f3504f3, v121
	;; [unrolled: 1-line block ×4, first 2 shown]
	v_lshlrev_b32_e32 v37, 3, v111
	v_fma_f32 v46, v55, 2.0, -v44
	v_fma_f32 v54, v122, 2.0, -v52
	;; [unrolled: 1-line block ×9, first 2 shown]
	ds_write2_b64 v109, v[35:36], v[42:43] offset1:48
	ds_write2_b64 v109, v[46:47], v[50:51] offset0:96 offset1:144
	ds_write2_b64 v109, v[54:55], v[58:59] offset0:192 offset1:240
	;; [unrolled: 1-line block ×7, first 2 shown]
	v_add_co_u32_e64 v44, s[0:1], s4, v37
	v_mov_b32_e32 v40, s5
	s_waitcnt lgkmcnt(0)
	; wave barrier
	s_waitcnt lgkmcnt(0)
	v_addc_co_u32_e64 v45, s[0:1], 0, v40, s[0:1]
	global_load_dwordx2 v[40:41], v37, s[4:5]
	ds_read2_b64 v[33:36], v109 offset1:48
	s_waitcnt vmcnt(0) lgkmcnt(0)
	v_mul_f32_e32 v42, v34, v41
	v_mul_f32_e32 v43, v33, v41
	v_fma_f32 v42, v33, v40, -v42
	v_fmac_f32_e32 v43, v34, v40
	global_load_dwordx2 v[33:34], v37, s[4:5] offset:384
	s_waitcnt vmcnt(0)
	v_mul_f32_e32 v40, v36, v34
	v_mul_f32_e32 v41, v35, v34
	v_fma_f32 v40, v35, v33, -v40
	v_fmac_f32_e32 v41, v36, v33
	ds_write2_b64 v109, v[42:43], v[40:41] offset1:48
	global_load_dwordx2 v[40:41], v37, s[4:5] offset:768
	ds_read2_b64 v[33:36], v109 offset0:96 offset1:144
	s_waitcnt vmcnt(0) lgkmcnt(0)
	v_mul_f32_e32 v42, v34, v41
	v_mul_f32_e32 v43, v33, v41
	v_fma_f32 v42, v33, v40, -v42
	v_fmac_f32_e32 v43, v34, v40
	global_load_dwordx2 v[33:34], v37, s[4:5] offset:1152
	s_waitcnt vmcnt(0)
	v_mul_f32_e32 v40, v36, v34
	v_mul_f32_e32 v41, v35, v34
	v_fma_f32 v40, v35, v33, -v40
	v_fmac_f32_e32 v41, v36, v33
	ds_write2_b64 v109, v[42:43], v[40:41] offset0:96 offset1:144
	global_load_dwordx2 v[40:41], v37, s[4:5] offset:1536
	ds_read2_b64 v[33:36], v109 offset0:192 offset1:240
	s_waitcnt vmcnt(0) lgkmcnt(0)
	v_mul_f32_e32 v42, v34, v41
	v_mul_f32_e32 v43, v33, v41
	v_fma_f32 v42, v33, v40, -v42
	v_fmac_f32_e32 v43, v34, v40
	global_load_dwordx2 v[33:34], v37, s[4:5] offset:1920
	s_waitcnt vmcnt(0)
	v_mul_f32_e32 v40, v36, v34
	v_mul_f32_e32 v41, v35, v34
	v_fma_f32 v40, v35, v33, -v40
	v_fmac_f32_e32 v41, v36, v33
	ds_write2_b64 v109, v[42:43], v[40:41] offset0:192 offset1:240
	;; [unrolled: 14-line block ×4, first 2 shown]
	global_load_dwordx2 v[40:41], v37, s[4:5] offset:3840
	ds_read2_b64 v[33:36], v32 offset0:96 offset1:144
	s_waitcnt vmcnt(0) lgkmcnt(0)
	v_mul_f32_e32 v37, v34, v41
	v_mul_f32_e32 v43, v33, v41
	v_fma_f32 v42, v33, v40, -v37
	v_fmac_f32_e32 v43, v34, v40
	v_add_co_u32_e64 v40, s[0:1], s12, v44
	v_addc_co_u32_e64 v41, s[0:1], 0, v45, s[0:1]
	global_load_dwordx2 v[33:34], v[40:41], off offset:128
	s_waitcnt vmcnt(0)
	v_mul_f32_e32 v37, v36, v34
	v_mul_f32_e32 v45, v35, v34
	v_fma_f32 v44, v35, v33, -v37
	v_fmac_f32_e32 v45, v36, v33
	ds_write2_b64 v32, v[42:43], v[44:45] offset0:96 offset1:144
	global_load_dwordx2 v[42:43], v39, s[4:5]
	ds_read2_b64 v[33:36], v1 offset0:64 offset1:112
	s_waitcnt vmcnt(0) lgkmcnt(0)
	v_mul_f32_e32 v37, v34, v43
	v_mul_f32_e32 v45, v33, v43
	v_fma_f32 v44, v33, v42, -v37
	v_fmac_f32_e32 v45, v34, v42
	global_load_dwordx2 v[33:34], v[40:41], off offset:896
	s_waitcnt vmcnt(0)
	v_mul_f32_e32 v37, v36, v34
	v_mul_f32_e32 v43, v35, v34
	v_fma_f32 v42, v35, v33, -v37
	v_fmac_f32_e32 v43, v36, v33
	ds_write2_b64 v1, v[44:45], v[42:43] offset0:64 offset1:112
	global_load_dwordx2 v[42:43], v[40:41], off offset:1280
	ds_read2_b64 v[33:36], v1 offset0:160 offset1:208
	s_waitcnt vmcnt(0) lgkmcnt(0)
	v_mul_f32_e32 v37, v34, v43
	v_mul_f32_e32 v45, v33, v43
	v_fma_f32 v44, v33, v42, -v37
	v_fmac_f32_e32 v45, v34, v42
	global_load_dwordx2 v[33:34], v[40:41], off offset:1664
	s_waitcnt vmcnt(0)
	v_mul_f32_e32 v37, v36, v34
	v_mul_f32_e32 v40, v35, v34
	v_fma_f32 v39, v35, v33, -v37
	v_fmac_f32_e32 v40, v36, v33
	ds_write2_b64 v1, v[44:45], v[39:40] offset0:160 offset1:208
	s_waitcnt lgkmcnt(0)
	; wave barrier
	s_waitcnt lgkmcnt(0)
	ds_read2_b64 v[33:36], v109 offset1:48
	ds_read2_b64 v[39:42], v109 offset0:96 offset1:144
	ds_read2_b64 v[43:46], v109 offset0:192 offset1:240
	;; [unrolled: 1-line block ×7, first 2 shown]
	s_waitcnt lgkmcnt(0)
	v_sub_f32_e32 v32, v33, v51
	v_sub_f32_e32 v37, v34, v52
	;; [unrolled: 1-line block ×4, first 2 shown]
	v_fma_f32 v43, v43, 2.0, -v51
	v_fma_f32 v44, v44, 2.0, -v52
	v_sub_f32_e32 v55, v39, v55
	v_sub_f32_e32 v56, v40, v56
	;; [unrolled: 1-line block ×8, first 2 shown]
	v_add_f32_e32 v52, v32, v52
	v_sub_f32_e32 v51, v37, v51
	v_fma_f32 v33, v33, 2.0, -v32
	v_fma_f32 v34, v34, 2.0, -v37
	;; [unrolled: 1-line block ×6, first 2 shown]
	v_sub_f32_e32 v57, v41, v57
	v_sub_f32_e32 v58, v42, v58
	;; [unrolled: 1-line block ×4, first 2 shown]
	v_fma_f32 v32, v32, 2.0, -v52
	v_fma_f32 v37, v37, 2.0, -v51
	v_add_f32_e32 v60, v55, v60
	v_sub_f32_e32 v59, v56, v59
	v_add_f32_e32 v62, v53, v62
	v_sub_f32_e32 v61, v54, v61
	v_fma_f32 v39, v39, 2.0, -v55
	v_fma_f32 v40, v40, 2.0, -v56
	;; [unrolled: 1-line block ×10, first 2 shown]
	v_add_f32_e32 v119, v57, v119
	v_sub_f32_e32 v63, v58, v63
	v_mov_b32_e32 v122, v32
	v_mov_b32_e32 v123, v37
	v_fma_f32 v41, v41, 2.0, -v57
	v_fma_f32 v42, v42, 2.0, -v58
	;; [unrolled: 1-line block ×4, first 2 shown]
	v_fmac_f32_e32 v122, 0xbf3504f3, v55
	v_fmac_f32_e32 v123, 0xbf3504f3, v56
	v_mov_b32_e32 v130, v53
	v_mov_b32_e32 v131, v54
	v_sub_f32_e32 v45, v35, v45
	v_sub_f32_e32 v46, v36, v46
	;; [unrolled: 1-line block ×4, first 2 shown]
	v_fmac_f32_e32 v122, 0x3f3504f3, v56
	v_fmac_f32_e32 v123, 0xbf3504f3, v55
	;; [unrolled: 1-line block ×4, first 2 shown]
	v_sub_f32_e32 v43, v33, v43
	v_sub_f32_e32 v44, v34, v44
	;; [unrolled: 1-line block ×4, first 2 shown]
	v_fma_f32 v35, v35, 2.0, -v45
	v_fma_f32 v36, v36, 2.0, -v46
	;; [unrolled: 1-line block ×6, first 2 shown]
	v_fmac_f32_e32 v130, 0x3f3504f3, v58
	v_fmac_f32_e32 v131, 0xbf3504f3, v57
	v_fma_f32 v39, v39, 2.0, -v47
	v_fma_f32 v40, v40, 2.0, -v48
	v_add_f32_e32 v124, v43, v48
	v_sub_f32_e32 v125, v44, v47
	v_mov_b32_e32 v126, v52
	v_mov_b32_e32 v127, v51
	v_sub_f32_e32 v128, v35, v41
	v_sub_f32_e32 v129, v36, v42
	v_fma_f32 v47, v53, 2.0, -v130
	v_fma_f32 v48, v54, 2.0, -v131
	v_mov_b32_e32 v41, v32
	v_mov_b32_e32 v42, v37
	v_fma_f32 v33, v33, 2.0, -v43
	v_fma_f32 v34, v34, 2.0, -v44
	v_fma_f32 v55, v43, 2.0, -v124
	v_fma_f32 v56, v44, 2.0, -v125
	v_fmac_f32_e32 v126, 0x3f3504f3, v60
	v_fmac_f32_e32 v127, 0x3f3504f3, v59
	v_add_f32_e32 v132, v45, v50
	v_sub_f32_e32 v133, v46, v49
	v_mov_b32_e32 v134, v62
	v_mov_b32_e32 v135, v61
	v_fmac_f32_e32 v41, 0xbf6c835e, v47
	v_fmac_f32_e32 v42, 0xbf6c835e, v48
	v_sub_f32_e32 v120, v33, v39
	v_sub_f32_e32 v121, v34, v40
	v_fmac_f32_e32 v126, 0x3f3504f3, v59
	v_fmac_f32_e32 v127, 0xbf3504f3, v60
	v_fma_f32 v49, v45, 2.0, -v132
	v_fma_f32 v50, v46, 2.0, -v133
	v_fmac_f32_e32 v134, 0x3f3504f3, v119
	v_fmac_f32_e32 v135, 0x3f3504f3, v63
	;; [unrolled: 1-line block ×4, first 2 shown]
	v_mov_b32_e32 v47, v55
	v_mov_b32_e32 v48, v56
	v_fma_f32 v33, v33, 2.0, -v120
	v_fma_f32 v34, v34, 2.0, -v121
	;; [unrolled: 1-line block ×6, first 2 shown]
	v_fmac_f32_e32 v134, 0x3f3504f3, v63
	v_fmac_f32_e32 v135, 0xbf3504f3, v119
	;; [unrolled: 1-line block ×4, first 2 shown]
	v_fma_f32 v53, v62, 2.0, -v134
	v_fma_f32 v54, v61, 2.0, -v135
	v_sub_f32_e32 v39, v33, v35
	v_sub_f32_e32 v40, v34, v36
	v_fmac_f32_e32 v47, 0x3f3504f3, v50
	v_fmac_f32_e32 v48, 0xbf3504f3, v49
	v_mov_b32_e32 v49, v59
	v_mov_b32_e32 v50, v60
	;; [unrolled: 1-line block ×4, first 2 shown]
	v_fma_f32 v43, v33, 2.0, -v39
	v_fma_f32 v44, v34, 2.0, -v40
	;; [unrolled: 1-line block ×3, first 2 shown]
	v_fmac_f32_e32 v49, 0xbec3ef15, v53
	v_fmac_f32_e32 v50, 0xbec3ef15, v54
	;; [unrolled: 1-line block ×4, first 2 shown]
	v_mov_b32_e32 v32, v124
	v_mov_b32_e32 v33, v125
	v_mov_b32_e32 v34, v126
	v_mov_b32_e32 v35, v127
	v_fma_f32 v51, v55, 2.0, -v47
	v_fma_f32 v52, v56, 2.0, -v48
	v_fmac_f32_e32 v49, 0x3f6c835e, v54
	v_fmac_f32_e32 v50, 0xbf6c835e, v53
	v_add_f32_e32 v55, v120, v129
	v_sub_f32_e32 v56, v121, v128
	v_fmac_f32_e32 v57, 0x3f6c835e, v131
	v_fmac_f32_e32 v58, 0xbf6c835e, v130
	;; [unrolled: 1-line block ×6, first 2 shown]
	v_fma_f32 v46, v37, 2.0, -v42
	v_fma_f32 v53, v59, 2.0, -v49
	;; [unrolled: 1-line block ×7, first 2 shown]
	v_fmac_f32_e32 v32, 0x3f3504f3, v133
	v_fmac_f32_e32 v33, 0xbf3504f3, v132
	;; [unrolled: 1-line block ×4, first 2 shown]
	v_fma_f32 v119, v124, 2.0, -v32
	v_fma_f32 v120, v125, 2.0, -v33
	;; [unrolled: 1-line block ×4, first 2 shown]
	; wave barrier
	ds_write_b128 v38, v[43:46]
	ds_write_b128 v38, v[51:54] offset:16
	ds_write_b128 v38, v[59:62] offset:32
	;; [unrolled: 1-line block ×7, first 2 shown]
	s_waitcnt lgkmcnt(0)
	; wave barrier
	s_waitcnt lgkmcnt(0)
	ds_read2_b64 v[44:47], v109 offset1:48
	ds_read2st64_b64 v[36:39], v109 offset0:3 offset1:4
	ds_read2_b64 v[60:63], v1 offset1:48
	ds_read2_b64 v[56:59], v0 offset0:48 offset1:96
	ds_read2_b64 v[40:43], v109 offset0:96 offset1:144
	ds_read2_b64 v[52:55], v1 offset0:96 offset1:144
	ds_read2_b64 v[48:51], v0 offset0:144 offset1:192
	ds_read_b64 v[32:33], v109 offset:5632
	s_and_saveexec_b64 s[0:1], vcc
	s_cbranch_execz .LBB0_7
; %bb.6:
	v_add_u32_e32 v0, 0x180, v109
	ds_read2st64_b64 v[0:3], v0 offset0:3 offset1:7
	ds_read_b64 v[103:104], v109 offset:6016
	s_waitcnt lgkmcnt(1)
	v_mov_b32_e32 v34, v0
	v_mov_b32_e32 v35, v1
.LBB0_7:
	s_or_b64 exec, exec, s[0:1]
	s_waitcnt lgkmcnt(6)
	v_mul_f32_e32 v0, v98, v38
	v_mul_f32_e32 v119, v98, v39
	v_fma_f32 v39, v113, v39, -v0
	s_waitcnt lgkmcnt(5)
	v_mul_f32_e32 v120, v100, v61
	v_mul_f32_e32 v0, v100, v60
	v_fmac_f32_e32 v120, v102, v60
	v_fma_f32 v60, v102, v61, -v0
	s_waitcnt lgkmcnt(4)
	v_mul_f32_e32 v61, v98, v57
	v_mul_f32_e32 v0, v98, v56
	v_fmac_f32_e32 v61, v113, v56
	v_fma_f32 v56, v113, v57, -v0
	v_mul_f32_e32 v57, v100, v63
	v_mul_f32_e32 v0, v100, v62
	v_fmac_f32_e32 v57, v102, v62
	v_fma_f32 v62, v102, v63, -v0
	v_mul_f32_e32 v63, v98, v59
	v_mul_f32_e32 v0, v98, v58
	v_fmac_f32_e32 v63, v113, v58
	v_fma_f32 v58, v113, v59, -v0
	s_waitcnt lgkmcnt(2)
	v_mul_f32_e32 v0, v100, v52
	v_mul_f32_e32 v59, v100, v53
	v_fma_f32 v53, v102, v53, -v0
	s_waitcnt lgkmcnt(1)
	v_mul_f32_e32 v0, v98, v48
	v_fma_f32 v122, v113, v49, -v0
	v_mul_f32_e32 v0, v100, v54
	v_fmac_f32_e32 v119, v113, v38
	v_mul_f32_e32 v121, v98, v49
	v_fma_f32 v124, v102, v55, -v0
	v_mul_f32_e32 v125, v98, v51
	v_mul_f32_e32 v0, v98, v50
	v_fmac_f32_e32 v121, v113, v48
	v_fmac_f32_e32 v125, v113, v50
	v_fma_f32 v98, v113, v51, -v0
	s_waitcnt lgkmcnt(0)
	v_mul_f32_e32 v113, v100, v33
	v_mul_f32_e32 v0, v100, v32
	v_add_f32_e32 v1, v119, v120
	v_mul_f32_e32 v123, v100, v55
	v_fmac_f32_e32 v113, v102, v32
	v_fma_f32 v100, v102, v33, -v0
	v_fma_f32 v32, -0.5, v1, v44
	v_add_f32_e32 v33, v39, v60
	v_sub_f32_e32 v1, v39, v60
	v_mov_b32_e32 v38, v32
	v_fma_f32 v33, -0.5, v33, v45
	v_add_f32_e32 v0, v44, v119
	v_fmac_f32_e32 v38, 0xbf5db3d7, v1
	v_fmac_f32_e32 v32, 0x3f5db3d7, v1
	v_add_f32_e32 v1, v45, v39
	v_sub_f32_e32 v44, v119, v120
	v_mov_b32_e32 v39, v33
	v_add_f32_e32 v45, v61, v57
	v_fmac_f32_e32 v39, 0x3f5db3d7, v44
	v_fmac_f32_e32 v33, 0xbf5db3d7, v44
	v_add_f32_e32 v44, v46, v61
	v_fma_f32 v46, -0.5, v45, v46
	v_sub_f32_e32 v45, v56, v62
	v_mov_b32_e32 v48, v46
	v_add_f32_e32 v49, v56, v62
	v_fmac_f32_e32 v59, v102, v52
	v_fmac_f32_e32 v48, 0xbf5db3d7, v45
	;; [unrolled: 1-line block ×3, first 2 shown]
	v_add_f32_e32 v45, v47, v56
	v_fmac_f32_e32 v47, -0.5, v49
	v_sub_f32_e32 v50, v61, v57
	v_mov_b32_e32 v49, v47
	v_add_f32_e32 v51, v63, v59
	v_fmac_f32_e32 v49, 0x3f5db3d7, v50
	v_fmac_f32_e32 v47, 0xbf5db3d7, v50
	v_add_f32_e32 v50, v40, v63
	v_fma_f32 v40, -0.5, v51, v40
	v_sub_f32_e32 v51, v58, v53
	v_mov_b32_e32 v52, v40
	v_fmac_f32_e32 v52, 0xbf5db3d7, v51
	v_fmac_f32_e32 v40, 0x3f5db3d7, v51
	v_add_f32_e32 v51, v41, v58
	v_add_f32_e32 v51, v51, v53
	;; [unrolled: 1-line block ×3, first 2 shown]
	v_fmac_f32_e32 v123, v102, v54
	v_fma_f32 v41, -0.5, v53, v41
	v_sub_f32_e32 v54, v63, v59
	v_mov_b32_e32 v53, v41
	v_add_f32_e32 v55, v121, v123
	v_fmac_f32_e32 v53, 0x3f5db3d7, v54
	v_fmac_f32_e32 v41, 0xbf5db3d7, v54
	v_add_f32_e32 v54, v42, v121
	v_fma_f32 v42, -0.5, v55, v42
	v_add_f32_e32 v44, v44, v57
	v_sub_f32_e32 v55, v122, v124
	v_mov_b32_e32 v56, v42
	v_add_f32_e32 v57, v122, v124
	v_fmac_f32_e32 v56, 0xbf5db3d7, v55
	v_fmac_f32_e32 v42, 0x3f5db3d7, v55
	v_add_f32_e32 v55, v43, v122
	v_fmac_f32_e32 v43, -0.5, v57
	v_add_f32_e32 v50, v50, v59
	v_sub_f32_e32 v58, v121, v123
	v_mov_b32_e32 v57, v43
	v_add_f32_e32 v59, v125, v113
	v_fmac_f32_e32 v57, 0x3f5db3d7, v58
	v_fmac_f32_e32 v43, 0xbf5db3d7, v58
	v_add_f32_e32 v58, v36, v125
	v_fma_f32 v36, -0.5, v59, v36
	v_add_f32_e32 v1, v1, v60
	v_sub_f32_e32 v59, v98, v100
	v_mov_b32_e32 v60, v36
	v_add_f32_e32 v61, v98, v100
	v_fmac_f32_e32 v60, 0xbf5db3d7, v59
	v_fmac_f32_e32 v36, 0x3f5db3d7, v59
	v_add_f32_e32 v59, v37, v98
	v_fmac_f32_e32 v37, -0.5, v61
	v_add_f32_e32 v0, v0, v120
	v_add_f32_e32 v45, v45, v62
	v_sub_f32_e32 v62, v125, v113
	v_mov_b32_e32 v61, v37
	v_add_f32_e32 v54, v54, v123
	v_add_f32_e32 v55, v55, v124
	;; [unrolled: 1-line block ×4, first 2 shown]
	v_fmac_f32_e32 v61, 0x3f5db3d7, v62
	v_fmac_f32_e32 v37, 0xbf5db3d7, v62
	s_waitcnt lgkmcnt(0)
	; wave barrier
	ds_write2_b64 v114, v[0:1], v[38:39] offset1:16
	ds_write_b64 v114, v[32:33] offset:256
	ds_write2_b64 v115, v[44:45], v[48:49] offset1:16
	ds_write_b64 v115, v[46:47] offset:256
	;; [unrolled: 2-line block ×5, first 2 shown]
	s_and_saveexec_b64 s[0:1], vcc
	s_cbranch_execz .LBB0_9
; %bb.8:
	v_mul_f32_e32 v0, v101, v2
	v_fma_f32 v32, v97, v3, -v0
	v_mul_f32_e32 v0, v112, v103
	v_fma_f32 v36, v99, v104, -v0
	v_add_f32_e32 v0, v32, v36
	v_mul_f32_e32 v37, v101, v3
	v_mul_f32_e32 v38, v112, v104
	v_fma_f32 v1, -0.5, v0, v35
	v_fmac_f32_e32 v37, v97, v2
	v_fmac_f32_e32 v38, v99, v103
	v_sub_f32_e32 v0, v37, v38
	v_mov_b32_e32 v3, v1
	v_fmac_f32_e32 v3, 0xbf5db3d7, v0
	v_fmac_f32_e32 v1, 0x3f5db3d7, v0
	v_add_f32_e32 v0, v35, v32
	v_add_f32_e32 v33, v0, v36
	;; [unrolled: 1-line block ×3, first 2 shown]
	v_fma_f32 v0, -0.5, v0, v34
	v_sub_f32_e32 v32, v32, v36
	v_mov_b32_e32 v2, v0
	v_fmac_f32_e32 v2, 0x3f5db3d7, v32
	v_fmac_f32_e32 v0, 0xbf5db3d7, v32
	v_add_f32_e32 v32, v34, v37
	v_add_f32_e32 v32, v32, v38
	v_add_u32_e32 v34, 0x1000, v109
	ds_write2_b64 v34, v[32:33], v[0:1] offset0:208 offset1:224
	ds_write_b64 v109, v[2:3] offset:6016
.LBB0_9:
	s_or_b64 exec, exec, s[0:1]
	s_waitcnt lgkmcnt(0)
	; wave barrier
	s_waitcnt lgkmcnt(0)
	ds_read2_b64 v[32:35], v109 offset1:48
	ds_read2_b64 v[36:39], v109 offset0:96 offset1:144
	ds_read2_b64 v[40:43], v109 offset0:192 offset1:240
	v_add_u32_e32 v2, 0x800, v109
	ds_read2_b64 v[44:47], v2 offset0:32 offset1:80
	ds_read2_b64 v[48:51], v2 offset0:128 offset1:176
	s_waitcnt lgkmcnt(4)
	v_mul_f32_e32 v3, v25, v35
	v_mul_f32_e32 v25, v25, v34
	v_fmac_f32_e32 v3, v24, v34
	v_fma_f32 v24, v24, v35, -v25
	s_waitcnt lgkmcnt(3)
	v_mul_f32_e32 v25, v27, v37
	v_mul_f32_e32 v27, v27, v36
	v_fmac_f32_e32 v25, v26, v36
	v_fma_f32 v26, v26, v37, -v27
	v_mul_f32_e32 v27, v17, v39
	v_mul_f32_e32 v17, v17, v38
	v_add_u32_e32 v1, 0xc00, v109
	v_fmac_f32_e32 v27, v16, v38
	v_fma_f32 v16, v16, v39, -v17
	s_waitcnt lgkmcnt(2)
	v_mul_f32_e32 v17, v19, v41
	v_mul_f32_e32 v19, v19, v40
	ds_read2_b64 v[52:55], v1 offset0:96 offset1:144
	v_fmac_f32_e32 v17, v18, v40
	v_fma_f32 v18, v18, v41, -v19
	v_mul_f32_e32 v19, v9, v43
	v_mul_f32_e32 v9, v9, v42
	v_fmac_f32_e32 v19, v8, v42
	v_fma_f32 v8, v8, v43, -v9
	s_waitcnt lgkmcnt(2)
	v_mul_f32_e32 v9, v11, v45
	v_mul_f32_e32 v11, v11, v44
	v_add_u32_e32 v0, 0x1000, v109
	v_fmac_f32_e32 v9, v10, v44
	v_fma_f32 v10, v10, v45, -v11
	v_mul_f32_e32 v11, v5, v47
	v_mul_f32_e32 v5, v5, v46
	ds_read2_b64 v[56:59], v0 offset0:64 offset1:112
	ds_read2_b64 v[60:63], v0 offset0:160 offset1:208
	v_fmac_f32_e32 v11, v4, v46
	v_fma_f32 v4, v4, v47, -v5
	s_waitcnt lgkmcnt(3)
	v_mul_f32_e32 v5, v7, v49
	v_mul_f32_e32 v7, v7, v48
	v_fmac_f32_e32 v5, v6, v48
	v_fma_f32 v6, v6, v49, -v7
	v_mul_f32_e32 v7, v29, v51
	v_mul_f32_e32 v29, v29, v50
	v_fmac_f32_e32 v7, v28, v50
	v_fma_f32 v28, v28, v51, -v29
	s_waitcnt lgkmcnt(2)
	v_mul_f32_e32 v29, v31, v53
	v_mul_f32_e32 v31, v31, v52
	v_fmac_f32_e32 v29, v30, v52
	v_fma_f32 v30, v30, v53, -v31
	v_mul_f32_e32 v31, v21, v55
	v_mul_f32_e32 v21, v21, v54
	;; [unrolled: 9-line block ×3, first 2 shown]
	v_fmac_f32_e32 v23, v12, v58
	v_fma_f32 v12, v12, v59, -v13
	s_waitcnt lgkmcnt(0)
	v_mul_f32_e32 v13, v15, v61
	v_mul_f32_e32 v15, v15, v60
	v_fmac_f32_e32 v13, v14, v60
	v_fma_f32 v14, v14, v61, -v15
	v_mul_f32_e32 v15, v106, v63
	v_fmac_f32_e32 v15, v105, v62
	v_mul_f32_e32 v34, v106, v62
	v_sub_f32_e32 v5, v32, v5
	v_sub_f32_e32 v22, v18, v22
	;; [unrolled: 1-line block ×4, first 2 shown]
	v_fma_f32 v34, v105, v63, -v34
	v_sub_f32_e32 v6, v33, v6
	v_sub_f32_e32 v21, v17, v21
	v_fma_f32 v18, v18, 2.0, -v22
	v_sub_f32_e32 v29, v25, v29
	v_sub_f32_e32 v14, v10, v14
	;; [unrolled: 1-line block ×4, first 2 shown]
	v_fma_f32 v19, v19, 2.0, -v23
	v_sub_f32_e32 v20, v16, v20
	v_sub_f32_e32 v15, v11, v15
	v_add_f32_e32 v22, v5, v22
	v_sub_f32_e32 v23, v28, v23
	v_fma_f32 v17, v17, 2.0, -v21
	v_sub_f32_e32 v30, v26, v30
	v_sub_f32_e32 v13, v9, v13
	v_fma_f32 v10, v10, 2.0, -v14
	v_fma_f32 v24, v24, 2.0, -v28
	;; [unrolled: 1-line block ×3, first 2 shown]
	v_sub_f32_e32 v31, v27, v31
	v_sub_f32_e32 v34, v4, v34
	v_fma_f32 v11, v11, 2.0, -v15
	v_sub_f32_e32 v21, v6, v21
	v_add_f32_e32 v14, v29, v14
	v_add_f32_e32 v12, v7, v12
	v_fma_f32 v28, v28, 2.0, -v23
	v_sub_f32_e32 v15, v20, v15
	v_mov_b32_e32 v39, v22
	v_fma_f32 v32, v32, 2.0, -v5
	v_fma_f32 v33, v33, 2.0, -v6
	;; [unrolled: 1-line block ×10, first 2 shown]
	v_sub_f32_e32 v13, v30, v13
	v_fma_f32 v7, v7, 2.0, -v12
	v_add_f32_e32 v34, v31, v34
	v_fma_f32 v20, v20, 2.0, -v15
	v_fmac_f32_e32 v39, 0x3f3504f3, v14
	v_mov_b32_e32 v40, v21
	v_mov_b32_e32 v43, v28
	;; [unrolled: 1-line block ×3, first 2 shown]
	v_fma_f32 v26, v26, 2.0, -v30
	v_sub_f32_e32 v17, v32, v17
	v_sub_f32_e32 v9, v25, v9
	v_fma_f32 v29, v29, 2.0, -v14
	v_fma_f32 v30, v30, 2.0, -v13
	v_sub_f32_e32 v19, v3, v19
	v_sub_f32_e32 v11, v27, v11
	;; [unrolled: 1-line block ×3, first 2 shown]
	v_fma_f32 v31, v31, 2.0, -v34
	v_mov_b32_e32 v35, v5
	v_mov_b32_e32 v36, v6
	v_fmac_f32_e32 v40, 0x3f3504f3, v13
	v_fmac_f32_e32 v39, 0x3f3504f3, v13
	v_mov_b32_e32 v42, v7
	v_fmac_f32_e32 v43, 0xbf3504f3, v20
	v_fmac_f32_e32 v45, 0x3f3504f3, v34
	v_mov_b32_e32 v46, v23
	v_sub_f32_e32 v18, v33, v18
	v_fma_f32 v32, v32, 2.0, -v17
	v_sub_f32_e32 v10, v26, v10
	v_fma_f32 v25, v25, 2.0, -v9
	;; [unrolled: 2-line block ×3, first 2 shown]
	v_fma_f32 v27, v27, 2.0, -v11
	v_fmac_f32_e32 v35, 0xbf3504f3, v29
	v_fmac_f32_e32 v36, 0xbf3504f3, v30
	;; [unrolled: 1-line block ×3, first 2 shown]
	v_fma_f32 v22, v22, 2.0, -v39
	v_fmac_f32_e32 v42, 0xbf3504f3, v31
	v_fmac_f32_e32 v43, 0xbf3504f3, v31
	v_add_f32_e32 v31, v19, v4
	v_fmac_f32_e32 v46, 0x3f3504f3, v15
	v_fmac_f32_e32 v45, 0x3f3504f3, v15
	v_fma_f32 v33, v33, 2.0, -v18
	v_fma_f32 v26, v26, 2.0, -v10
	;; [unrolled: 1-line block ×4, first 2 shown]
	v_sub_f32_e32 v25, v32, v25
	v_fmac_f32_e32 v35, 0x3f3504f3, v30
	v_fmac_f32_e32 v36, 0xbf3504f3, v29
	v_sub_f32_e32 v38, v18, v9
	v_fma_f32 v21, v21, 2.0, -v40
	v_sub_f32_e32 v27, v3, v27
	v_fma_f32 v13, v19, 2.0, -v31
	v_fmac_f32_e32 v46, 0xbf3504f3, v34
	v_fma_f32 v19, v12, 2.0, -v45
	v_mov_b32_e32 v15, v22
	v_sub_f32_e32 v26, v33, v26
	v_fma_f32 v32, v32, 2.0, -v25
	v_fma_f32 v29, v5, 2.0, -v35
	;; [unrolled: 1-line block ×3, first 2 shown]
	v_add_f32_e32 v37, v17, v10
	v_sub_f32_e32 v41, v24, v16
	v_fma_f32 v3, v3, 2.0, -v27
	v_fmac_f32_e32 v42, 0x3f3504f3, v20
	v_fma_f32 v10, v28, 2.0, -v43
	v_sub_f32_e32 v44, v8, v11
	v_fma_f32 v20, v23, 2.0, -v46
	v_fmac_f32_e32 v15, 0xbec3ef15, v19
	v_mov_b32_e32 v16, v21
	v_mov_b32_e32 v28, v38
	v_fma_f32 v33, v33, 2.0, -v26
	v_fma_f32 v17, v17, 2.0, -v37
	;; [unrolled: 1-line block ×6, first 2 shown]
	v_sub_f32_e32 v3, v32, v3
	v_mov_b32_e32 v7, v29
	v_mov_b32_e32 v8, v30
	v_fmac_f32_e32 v16, 0xbec3ef15, v20
	v_fmac_f32_e32 v15, 0x3f6c835e, v20
	v_sub_f32_e32 v20, v26, v27
	v_mov_b32_e32 v27, v37
	v_fmac_f32_e32 v28, 0x3f3504f3, v44
	v_sub_f32_e32 v4, v33, v5
	v_fma_f32 v5, v32, 2.0, -v3
	v_fmac_f32_e32 v7, 0xbf6c835e, v9
	v_fmac_f32_e32 v8, 0xbf6c835e, v10
	v_mov_b32_e32 v11, v17
	v_mov_b32_e32 v12, v18
	;; [unrolled: 1-line block ×4, first 2 shown]
	v_fmac_f32_e32 v27, 0x3f3504f3, v31
	v_fmac_f32_e32 v28, 0xbf3504f3, v31
	v_mov_b32_e32 v31, v39
	v_mov_b32_e32 v32, v40
	v_fmac_f32_e32 v7, 0x3ec3ef15, v10
	v_fmac_f32_e32 v8, 0xbec3ef15, v9
	;; [unrolled: 1-line block ×8, first 2 shown]
	v_fma_f32 v6, v33, 2.0, -v4
	v_fma_f32 v9, v29, 2.0, -v7
	;; [unrolled: 1-line block ×3, first 2 shown]
	v_fmac_f32_e32 v11, 0x3f3504f3, v14
	v_fmac_f32_e32 v12, 0xbf3504f3, v13
	;; [unrolled: 1-line block ×3, first 2 shown]
	v_add_f32_e32 v19, v25, v41
	v_fmac_f32_e32 v23, 0x3f6c835e, v43
	v_fmac_f32_e32 v24, 0xbf6c835e, v42
	;; [unrolled: 1-line block ×5, first 2 shown]
	v_fma_f32 v13, v17, 2.0, -v11
	v_fma_f32 v14, v18, 2.0, -v12
	;; [unrolled: 1-line block ×12, first 2 shown]
	ds_write2_b64 v109, v[5:6], v[9:10] offset1:48
	ds_write2_b64 v109, v[13:14], v[17:18] offset0:96 offset1:144
	ds_write2_b64 v109, v[21:22], v[25:26] offset0:192 offset1:240
	;; [unrolled: 1-line block ×7, first 2 shown]
	s_waitcnt lgkmcnt(0)
	; wave barrier
	s_waitcnt lgkmcnt(0)
	ds_read2_b64 v[3:6], v109 offset1:48
	v_mad_u64_u32 v[97:98], s[0:1], s10, v78, 0
	s_mov_b32 s0, 0x55555555
	s_mov_b32 s1, 0x3f555555
	s_waitcnt lgkmcnt(0)
	v_mul_f32_e32 v8, v96, v4
	v_fmac_f32_e32 v8, v95, v3
	v_cvt_f64_f32_e32 v[8:9], v8
	v_mul_f32_e32 v3, v96, v3
	v_fma_f32 v3, v95, v4, -v3
	v_cvt_f64_f32_e32 v[3:4], v3
	v_mul_f64 v[8:9], v[8:9], s[0:1]
	v_mad_u64_u32 v[10:11], s[2:3], s8, v111, 0
	v_mov_b32_e32 v7, v98
	v_mul_f64 v[3:4], v[3:4], s[0:1]
	v_mad_u64_u32 v[12:13], s[2:3], s11, v78, v[7:8]
	v_mov_b32_e32 v7, v11
	v_mad_u64_u32 v[13:14], s[2:3], s9, v111, v[7:8]
	v_mov_b32_e32 v98, v12
	v_mul_f32_e32 v12, v94, v6
	v_fmac_f32_e32 v12, v93, v5
	v_mov_b32_e32 v11, v13
	v_cvt_f64_f32_e32 v[12:13], v12
	v_cvt_f32_f64_e32 v7, v[8:9]
	v_cvt_f32_f64_e32 v8, v[3:4]
	v_lshlrev_b64 v[3:4], 3, v[97:98]
	v_mov_b32_e32 v9, s7
	v_mul_f32_e32 v5, v94, v5
	v_add_co_u32_e32 v17, vcc, s6, v3
	v_fma_f32 v5, v93, v6, -v5
	v_addc_co_u32_e32 v18, vcc, v9, v4, vcc
	v_mul_f64 v[3:4], v[12:13], s[0:1]
	v_cvt_f64_f32_e32 v[5:6], v5
	v_lshlrev_b64 v[9:10], 3, v[10:11]
	s_mul_i32 s2, s9, 0x180
	v_add_co_u32_e32 v9, vcc, v17, v9
	v_mul_f64 v[11:12], v[5:6], s[0:1]
	v_addc_co_u32_e32 v10, vcc, v18, v10, vcc
	global_store_dwordx2 v[9:10], v[7:8], off
	v_cvt_f32_f64_e32 v7, v[3:4]
	ds_read2_b64 v[3:6], v109 offset0:96 offset1:144
	s_mul_hi_u32 s3, s8, 0x180
	s_add_i32 s2, s3, s2
	v_cvt_f32_f64_e32 v8, v[11:12]
	s_mul_i32 s3, s8, 0x180
	s_waitcnt lgkmcnt(0)
	v_mul_f32_e32 v11, v90, v4
	v_fmac_f32_e32 v11, v89, v3
	v_mul_f32_e32 v3, v90, v3
	v_fma_f32 v3, v89, v4, -v3
	v_cvt_f64_f32_e32 v[11:12], v11
	v_cvt_f64_f32_e32 v[3:4], v3
	v_mov_b32_e32 v13, s2
	v_add_co_u32_e32 v9, vcc, s3, v9
	v_mul_f64 v[11:12], v[11:12], s[0:1]
	v_mul_f64 v[3:4], v[3:4], s[0:1]
	v_addc_co_u32_e32 v10, vcc, v10, v13, vcc
	global_store_dwordx2 v[9:10], v[7:8], off
	v_mul_f32_e32 v7, v86, v6
	v_fmac_f32_e32 v7, v85, v5
	v_cvt_f64_f32_e32 v[7:8], v7
	v_cvt_f32_f64_e32 v11, v[11:12]
	v_cvt_f32_f64_e32 v12, v[3:4]
	v_mul_f32_e32 v3, v86, v5
	v_mul_f64 v[7:8], v[7:8], s[0:1]
	v_fma_f32 v3, v85, v6, -v3
	v_cvt_f64_f32_e32 v[13:14], v3
	ds_read2_b64 v[3:6], v109 offset0:192 offset1:240
	v_mov_b32_e32 v15, s2
	v_add_co_u32_e32 v9, vcc, s3, v9
	v_addc_co_u32_e32 v10, vcc, v10, v15, vcc
	v_cvt_f32_f64_e32 v7, v[7:8]
	s_waitcnt lgkmcnt(0)
	v_mul_f32_e32 v8, v92, v4
	v_fmac_f32_e32 v8, v91, v3
	v_mul_f32_e32 v3, v92, v3
	v_fma_f32 v3, v91, v4, -v3
	global_store_dwordx2 v[9:10], v[11:12], off
	v_mul_f64 v[11:12], v[13:14], s[0:1]
	v_cvt_f64_f32_e32 v[3:4], v3
	v_cvt_f64_f32_e32 v[13:14], v8
	v_add_co_u32_e32 v9, vcc, s3, v9
	v_mul_f64 v[3:4], v[3:4], s[0:1]
	v_addc_co_u32_e32 v10, vcc, v10, v15, vcc
	v_cvt_f32_f64_e32 v8, v[11:12]
	v_mul_f64 v[11:12], v[13:14], s[0:1]
	v_mad_u64_u32 v[13:14], s[4:5], s8, v110, 0
	global_store_dwordx2 v[9:10], v[7:8], off
	v_cvt_f32_f64_e32 v8, v[3:4]
	v_mov_b32_e32 v3, v14
	v_mad_u64_u32 v[3:4], s[4:5], s9, v110, v[3:4]
	v_mul_f32_e32 v4, v88, v6
	v_fmac_f32_e32 v4, v87, v5
	v_cvt_f32_f64_e32 v7, v[11:12]
	v_cvt_f64_f32_e32 v[11:12], v4
	v_mul_f32_e32 v4, v88, v5
	v_fma_f32 v4, v87, v6, -v4
	v_cvt_f64_f32_e32 v[4:5], v4
	v_mov_b32_e32 v14, v3
	v_lshlrev_b64 v[13:14], 3, v[13:14]
	v_mul_f64 v[11:12], v[11:12], s[0:1]
	v_add_co_u32_e32 v3, vcc, v17, v13
	v_mul_f64 v[15:16], v[4:5], s[0:1]
	v_addc_co_u32_e32 v4, vcc, v18, v14, vcc
	global_store_dwordx2 v[3:4], v[7:8], off
	ds_read2_b64 v[3:6], v2 offset0:32 offset1:80
	v_cvt_f32_f64_e32 v7, v[11:12]
	s_mul_i32 s4, s9, 0x300
	s_mul_hi_u32 s5, s8, 0x300
	v_cvt_f32_f64_e32 v8, v[15:16]
	s_waitcnt lgkmcnt(0)
	v_mul_f32_e32 v11, v84, v4
	v_fmac_f32_e32 v11, v83, v3
	v_cvt_f64_f32_e32 v[11:12], v11
	v_mul_f32_e32 v3, v84, v3
	v_fma_f32 v3, v83, v4, -v3
	v_cvt_f64_f32_e32 v[3:4], v3
	v_mul_f64 v[11:12], v[11:12], s[0:1]
	s_add_i32 s5, s5, s4
	s_mul_i32 s4, s8, 0x300
	v_mov_b32_e32 v13, s5
	v_add_co_u32_e32 v9, vcc, s4, v9
	v_mul_f64 v[3:4], v[3:4], s[0:1]
	v_addc_co_u32_e32 v10, vcc, v10, v13, vcc
	global_store_dwordx2 v[9:10], v[7:8], off
	v_mul_f32_e32 v8, v80, v6
	v_fmac_f32_e32 v8, v79, v5
	v_mul_f32_e32 v5, v80, v5
	v_cvt_f32_f64_e32 v7, v[11:12]
	v_cvt_f64_f32_e32 v[11:12], v8
	v_fma_f32 v5, v79, v6, -v5
	v_cvt_f64_f32_e32 v[5:6], v5
	v_cvt_f32_f64_e32 v8, v[3:4]
	v_mov_b32_e32 v3, s2
	v_mul_f64 v[11:12], v[11:12], s[0:1]
	v_add_co_u32_e32 v9, vcc, s3, v9
	v_mul_f64 v[13:14], v[5:6], s[0:1]
	v_addc_co_u32_e32 v10, vcc, v10, v3, vcc
	ds_read2_b64 v[2:5], v2 offset0:128 offset1:176
	global_store_dwordx2 v[9:10], v[7:8], off
	v_cvt_f32_f64_e32 v6, v[11:12]
	s_waitcnt lgkmcnt(0)
	v_mul_f32_e32 v8, v82, v3
	v_fmac_f32_e32 v8, v81, v2
	v_cvt_f64_f32_e32 v[11:12], v8
	v_mul_f32_e32 v2, v82, v2
	v_cvt_f32_f64_e32 v7, v[13:14]
	v_mov_b32_e32 v13, s2
	v_add_co_u32_e32 v8, vcc, s3, v9
	v_fma_f32 v2, v81, v3, -v2
	v_addc_co_u32_e32 v9, vcc, v10, v13, vcc
	v_mul_f64 v[10:11], v[11:12], s[0:1]
	v_cvt_f64_f32_e32 v[2:3], v2
	v_mad_u64_u32 v[12:13], s[6:7], s8, v108, 0
	global_store_dwordx2 v[8:9], v[6:7], off
	v_mul_f64 v[2:3], v[2:3], s[0:1]
	v_mov_b32_e32 v7, v13
	v_cvt_f32_f64_e32 v6, v[10:11]
	v_mad_u64_u32 v[10:11], s[6:7], s9, v108, v[7:8]
	v_mul_f32_e32 v7, v77, v5
	v_fmac_f32_e32 v7, v76, v4
	v_cvt_f64_f32_e32 v[14:15], v7
	v_cvt_f32_f64_e32 v7, v[2:3]
	v_mul_f32_e32 v2, v77, v4
	v_mov_b32_e32 v13, v10
	v_fma_f32 v2, v76, v5, -v2
	v_lshlrev_b64 v[10:11], 3, v[12:13]
	v_mul_f64 v[12:13], v[14:15], s[0:1]
	v_cvt_f64_f32_e32 v[14:15], v2
	ds_read2_b64 v[1:4], v1 offset0:96 offset1:144
	v_add_co_u32_e32 v10, vcc, v17, v10
	v_addc_co_u32_e32 v11, vcc, v18, v11, vcc
	global_store_dwordx2 v[10:11], v[6:7], off
	v_mul_f64 v[5:6], v[14:15], s[0:1]
	s_waitcnt lgkmcnt(0)
	v_mul_f32_e32 v7, v73, v2
	v_fmac_f32_e32 v7, v72, v1
	v_mul_f32_e32 v1, v73, v1
	v_fma_f32 v1, v72, v2, -v1
	v_cvt_f32_f64_e32 v10, v[12:13]
	v_cvt_f64_f32_e32 v[12:13], v7
	v_cvt_f64_f32_e32 v[1:2], v1
	v_cvt_f32_f64_e32 v11, v[5:6]
	v_mov_b32_e32 v14, s5
	v_mul_f64 v[5:6], v[12:13], s[0:1]
	v_mul_f64 v[1:2], v[1:2], s[0:1]
	v_add_co_u32_e32 v7, vcc, s4, v8
	v_addc_co_u32_e32 v8, vcc, v9, v14, vcc
	v_mul_f32_e32 v9, v75, v4
	v_fmac_f32_e32 v9, v74, v3
	global_store_dwordx2 v[7:8], v[10:11], off
	v_cvt_f64_f32_e32 v[9:10], v9
	v_cvt_f32_f64_e32 v5, v[5:6]
	v_cvt_f32_f64_e32 v6, v[1:2]
	v_mul_f32_e32 v1, v75, v3
	v_mul_f64 v[9:10], v[9:10], s[0:1]
	v_fma_f32 v1, v74, v4, -v1
	v_cvt_f64_f32_e32 v[11:12], v1
	ds_read2_b64 v[1:4], v0 offset0:64 offset1:112
	v_mov_b32_e32 v13, s2
	v_add_co_u32_e32 v7, vcc, s3, v7
	v_addc_co_u32_e32 v8, vcc, v8, v13, vcc
	global_store_dwordx2 v[7:8], v[5:6], off
	v_mul_f64 v[5:6], v[11:12], s[0:1]
	v_cvt_f32_f64_e32 v9, v[9:10]
	s_waitcnt lgkmcnt(0)
	v_mul_f32_e32 v10, v71, v2
	v_fmac_f32_e32 v10, v70, v1
	v_mul_f32_e32 v1, v71, v1
	v_fma_f32 v1, v70, v2, -v1
	v_cvt_f64_f32_e32 v[11:12], v10
	v_cvt_f64_f32_e32 v[1:2], v1
	v_cvt_f32_f64_e32 v10, v[5:6]
	v_add_co_u32_e32 v7, vcc, s3, v7
	v_mul_f64 v[5:6], v[11:12], s[0:1]
	v_mul_f64 v[1:2], v[1:2], s[0:1]
	v_mad_u64_u32 v[11:12], s[6:7], s8, v107, 0
	v_addc_co_u32_e32 v8, vcc, v8, v13, vcc
	global_store_dwordx2 v[7:8], v[9:10], off
	v_cvt_f32_f64_e32 v5, v[5:6]
	v_cvt_f32_f64_e32 v6, v[1:2]
	v_mov_b32_e32 v1, v12
	v_mad_u64_u32 v[1:2], s[6:7], s9, v107, v[1:2]
	v_mul_f32_e32 v2, v69, v4
	v_fmac_f32_e32 v2, v68, v3
	v_cvt_f64_f32_e32 v[9:10], v2
	v_mul_f32_e32 v2, v69, v3
	v_fma_f32 v2, v68, v4, -v2
	v_cvt_f64_f32_e32 v[2:3], v2
	v_mov_b32_e32 v12, v1
	v_mul_f64 v[9:10], v[9:10], s[0:1]
	v_lshlrev_b64 v[11:12], 3, v[11:12]
	v_mul_f64 v[13:14], v[2:3], s[0:1]
	ds_read2_b64 v[0:3], v0 offset0:160 offset1:208
	v_add_co_u32_e32 v11, vcc, v17, v11
	v_addc_co_u32_e32 v12, vcc, v18, v12, vcc
	global_store_dwordx2 v[11:12], v[5:6], off
	s_waitcnt lgkmcnt(0)
	v_mul_f32_e32 v6, v67, v1
	v_fmac_f32_e32 v6, v66, v0
	v_mul_f32_e32 v0, v67, v0
	v_fma_f32 v0, v66, v1, -v0
	v_cvt_f32_f64_e32 v4, v[9:10]
	v_cvt_f32_f64_e32 v5, v[13:14]
	v_cvt_f64_f32_e32 v[9:10], v6
	v_cvt_f64_f32_e32 v[0:1], v0
	v_mov_b32_e32 v11, s5
	v_add_co_u32_e32 v6, vcc, s4, v7
	v_addc_co_u32_e32 v7, vcc, v8, v11, vcc
	global_store_dwordx2 v[6:7], v[4:5], off
	v_mul_f64 v[4:5], v[9:10], s[0:1]
	v_mul_f64 v[0:1], v[0:1], s[0:1]
	v_mul_f32_e32 v8, v65, v3
	v_fmac_f32_e32 v8, v64, v2
	v_mul_f32_e32 v2, v65, v2
	v_fma_f32 v2, v64, v3, -v2
	v_cvt_f64_f32_e32 v[8:9], v8
	v_cvt_f64_f32_e32 v[2:3], v2
	v_cvt_f32_f64_e32 v4, v[4:5]
	v_cvt_f32_f64_e32 v5, v[0:1]
	v_mul_f64 v[0:1], v[8:9], s[0:1]
	v_mul_f64 v[2:3], v[2:3], s[0:1]
	v_mov_b32_e32 v8, s2
	v_add_co_u32_e32 v6, vcc, s3, v6
	v_addc_co_u32_e32 v7, vcc, v7, v8, vcc
	global_store_dwordx2 v[6:7], v[4:5], off
	v_cvt_f32_f64_e32 v0, v[0:1]
	v_cvt_f32_f64_e32 v1, v[2:3]
	v_mov_b32_e32 v3, s2
	v_add_co_u32_e32 v2, vcc, s3, v6
	v_addc_co_u32_e32 v3, vcc, v7, v3, vcc
	global_store_dwordx2 v[2:3], v[0:1], off
.LBB0_10:
	s_endpgm
	.section	.rodata,"a",@progbits
	.p2align	6, 0x0
	.amdhsa_kernel bluestein_single_fwd_len768_dim1_sp_op_CI_CI
		.amdhsa_group_segment_fixed_size 6144
		.amdhsa_private_segment_fixed_size 0
		.amdhsa_kernarg_size 104
		.amdhsa_user_sgpr_count 6
		.amdhsa_user_sgpr_private_segment_buffer 1
		.amdhsa_user_sgpr_dispatch_ptr 0
		.amdhsa_user_sgpr_queue_ptr 0
		.amdhsa_user_sgpr_kernarg_segment_ptr 1
		.amdhsa_user_sgpr_dispatch_id 0
		.amdhsa_user_sgpr_flat_scratch_init 0
		.amdhsa_user_sgpr_private_segment_size 0
		.amdhsa_uses_dynamic_stack 0
		.amdhsa_system_sgpr_private_segment_wavefront_offset 0
		.amdhsa_system_sgpr_workgroup_id_x 1
		.amdhsa_system_sgpr_workgroup_id_y 0
		.amdhsa_system_sgpr_workgroup_id_z 0
		.amdhsa_system_sgpr_workgroup_info 0
		.amdhsa_system_vgpr_workitem_id 0
		.amdhsa_next_free_vgpr 136
		.amdhsa_next_free_sgpr 20
		.amdhsa_reserve_vcc 1
		.amdhsa_reserve_flat_scratch 0
		.amdhsa_float_round_mode_32 0
		.amdhsa_float_round_mode_16_64 0
		.amdhsa_float_denorm_mode_32 3
		.amdhsa_float_denorm_mode_16_64 3
		.amdhsa_dx10_clamp 1
		.amdhsa_ieee_mode 1
		.amdhsa_fp16_overflow 0
		.amdhsa_exception_fp_ieee_invalid_op 0
		.amdhsa_exception_fp_denorm_src 0
		.amdhsa_exception_fp_ieee_div_zero 0
		.amdhsa_exception_fp_ieee_overflow 0
		.amdhsa_exception_fp_ieee_underflow 0
		.amdhsa_exception_fp_ieee_inexact 0
		.amdhsa_exception_int_div_zero 0
	.end_amdhsa_kernel
	.text
.Lfunc_end0:
	.size	bluestein_single_fwd_len768_dim1_sp_op_CI_CI, .Lfunc_end0-bluestein_single_fwd_len768_dim1_sp_op_CI_CI
                                        ; -- End function
	.section	.AMDGPU.csdata,"",@progbits
; Kernel info:
; codeLenInByte = 11356
; NumSgprs: 24
; NumVgprs: 136
; ScratchSize: 0
; MemoryBound: 0
; FloatMode: 240
; IeeeMode: 1
; LDSByteSize: 6144 bytes/workgroup (compile time only)
; SGPRBlocks: 2
; VGPRBlocks: 33
; NumSGPRsForWavesPerEU: 24
; NumVGPRsForWavesPerEU: 136
; Occupancy: 1
; WaveLimiterHint : 1
; COMPUTE_PGM_RSRC2:SCRATCH_EN: 0
; COMPUTE_PGM_RSRC2:USER_SGPR: 6
; COMPUTE_PGM_RSRC2:TRAP_HANDLER: 0
; COMPUTE_PGM_RSRC2:TGID_X_EN: 1
; COMPUTE_PGM_RSRC2:TGID_Y_EN: 0
; COMPUTE_PGM_RSRC2:TGID_Z_EN: 0
; COMPUTE_PGM_RSRC2:TIDIG_COMP_CNT: 0
	.type	__hip_cuid_7a4ba7552ad8198b,@object ; @__hip_cuid_7a4ba7552ad8198b
	.section	.bss,"aw",@nobits
	.globl	__hip_cuid_7a4ba7552ad8198b
__hip_cuid_7a4ba7552ad8198b:
	.byte	0                               ; 0x0
	.size	__hip_cuid_7a4ba7552ad8198b, 1

	.ident	"AMD clang version 19.0.0git (https://github.com/RadeonOpenCompute/llvm-project roc-6.4.0 25133 c7fe45cf4b819c5991fe208aaa96edf142730f1d)"
	.section	".note.GNU-stack","",@progbits
	.addrsig
	.addrsig_sym __hip_cuid_7a4ba7552ad8198b
	.amdgpu_metadata
---
amdhsa.kernels:
  - .args:
      - .actual_access:  read_only
        .address_space:  global
        .offset:         0
        .size:           8
        .value_kind:     global_buffer
      - .actual_access:  read_only
        .address_space:  global
        .offset:         8
        .size:           8
        .value_kind:     global_buffer
      - .actual_access:  read_only
        .address_space:  global
        .offset:         16
        .size:           8
        .value_kind:     global_buffer
      - .actual_access:  read_only
        .address_space:  global
        .offset:         24
        .size:           8
        .value_kind:     global_buffer
      - .actual_access:  read_only
        .address_space:  global
        .offset:         32
        .size:           8
        .value_kind:     global_buffer
      - .offset:         40
        .size:           8
        .value_kind:     by_value
      - .address_space:  global
        .offset:         48
        .size:           8
        .value_kind:     global_buffer
      - .address_space:  global
        .offset:         56
        .size:           8
        .value_kind:     global_buffer
      - .address_space:  global
        .offset:         64
        .size:           8
        .value_kind:     global_buffer
      - .address_space:  global
        .offset:         72
        .size:           8
        .value_kind:     global_buffer
      - .offset:         80
        .size:           4
        .value_kind:     by_value
      - .address_space:  global
        .offset:         88
        .size:           8
        .value_kind:     global_buffer
      - .address_space:  global
        .offset:         96
        .size:           8
        .value_kind:     global_buffer
    .group_segment_fixed_size: 6144
    .kernarg_segment_align: 8
    .kernarg_segment_size: 104
    .language:       OpenCL C
    .language_version:
      - 2
      - 0
    .max_flat_workgroup_size: 48
    .name:           bluestein_single_fwd_len768_dim1_sp_op_CI_CI
    .private_segment_fixed_size: 0
    .sgpr_count:     24
    .sgpr_spill_count: 0
    .symbol:         bluestein_single_fwd_len768_dim1_sp_op_CI_CI.kd
    .uniform_work_group_size: 1
    .uses_dynamic_stack: false
    .vgpr_count:     136
    .vgpr_spill_count: 0
    .wavefront_size: 64
amdhsa.target:   amdgcn-amd-amdhsa--gfx906
amdhsa.version:
  - 1
  - 2
...

	.end_amdgpu_metadata
